;; amdgpu-corpus repo=ROCm/rocFFT kind=compiled arch=gfx1030 opt=O3
	.text
	.amdgcn_target "amdgcn-amd-amdhsa--gfx1030"
	.amdhsa_code_object_version 6
	.protected	bluestein_single_fwd_len1188_dim1_half_op_CI_CI ; -- Begin function bluestein_single_fwd_len1188_dim1_half_op_CI_CI
	.globl	bluestein_single_fwd_len1188_dim1_half_op_CI_CI
	.p2align	8
	.type	bluestein_single_fwd_len1188_dim1_half_op_CI_CI,@function
bluestein_single_fwd_len1188_dim1_half_op_CI_CI: ; @bluestein_single_fwd_len1188_dim1_half_op_CI_CI
; %bb.0:
	s_load_dwordx4 s[16:19], s[4:5], 0x28
	v_mul_u32_u24_e32 v1, 0x3e1, v0
	v_lshrrev_b32_e32 v1, 16, v1
	v_mad_u64_u32 v[16:17], null, s6, 3, v[1:2]
	v_mov_b32_e32 v17, 0
                                        ; kill: def $vgpr2 killed $sgpr0 killed $exec
	s_mov_b32 s0, exec_lo
	s_waitcnt lgkmcnt(0)
	v_cmpx_gt_u64_e64 s[16:17], v[16:17]
	s_cbranch_execz .LBB0_10
; %bb.1:
	s_clause 0x1
	s_load_dwordx4 s[8:11], s[4:5], 0x18
	s_load_dwordx4 s[0:3], s[4:5], 0x0
	v_mul_lo_u16 v1, 0x42, v1
	s_load_dwordx2 s[4:5], s[4:5], 0x38
                                        ; implicit-def: $vgpr94
                                        ; implicit-def: $vgpr95
                                        ; implicit-def: $vgpr96
                                        ; implicit-def: $vgpr92
                                        ; implicit-def: $vgpr93
                                        ; implicit-def: $vgpr39
                                        ; implicit-def: $vgpr40
	v_sub_nc_u16 v0, v0, v1
	v_and_b32_e32 v80, 0xffff, v0
	v_lshlrev_b32_e32 v45, 2, v80
	v_add_co_u32 v43, null, 0x42, v80
	s_waitcnt lgkmcnt(0)
	s_load_dwordx4 s[12:15], s[8:9], 0x0
	s_clause 0x2
	global_load_dword v82, v45, s[0:1]
	global_load_dword v81, v45, s[0:1] offset:792
	global_load_dword v79, v45, s[0:1] offset:1584
	v_add_co_u32 v15, s6, s0, v45
	v_add_co_ci_u32_e64 v24, null, s1, 0, s6
	v_add_co_u32 v42, null, 0x84, v80
	v_add_co_u32 v13, vcc_lo, 0x800, v15
	v_add_co_ci_u32_e32 v14, vcc_lo, 0, v24, vcc_lo
	global_load_dword v78, v[13:14], off offset:328
	s_waitcnt lgkmcnt(0)
	v_mad_u64_u32 v[1:2], null, s14, v16, 0
	v_mad_u64_u32 v[3:4], null, s12, v80, 0
	s_mul_i32 s7, s13, 0x318
	s_mul_hi_u32 s8, s12, 0x318
	s_mul_i32 s6, s12, 0x318
	s_add_i32 s7, s8, s7
	s_mul_i32 s8, s13, 0xfffff190
	v_mad_u64_u32 v[5:6], null, s15, v16, v[2:3]
	s_sub_i32 s8, s8, s12
	v_mad_u64_u32 v[6:7], null, s13, v80, v[4:5]
	v_mov_b32_e32 v2, v5
	v_lshlrev_b64 v[1:2], 2, v[1:2]
	v_mov_b32_e32 v4, v6
	v_add_co_u32 v1, vcc_lo, s18, v1
	v_lshlrev_b64 v[3:4], 2, v[3:4]
	v_add_co_ci_u32_e32 v2, vcc_lo, s19, v2, vcc_lo
	v_add_co_u32 v1, vcc_lo, v1, v3
	v_add_co_ci_u32_e32 v2, vcc_lo, v2, v4, vcc_lo
	v_add_co_u32 v5, vcc_lo, v1, s6
	v_add_co_ci_u32_e32 v6, vcc_lo, s7, v2, vcc_lo
	global_load_dword v4, v[1:2], off
	v_add_co_u32 v7, vcc_lo, v5, s6
	v_add_co_ci_u32_e32 v8, vcc_lo, s7, v6, vcc_lo
	s_clause 0x1
	global_load_dword v2, v[5:6], off
	global_load_dword v1, v[7:8], off
	v_add_co_u32 v5, vcc_lo, v7, s6
	v_add_co_ci_u32_e32 v6, vcc_lo, s7, v8, vcc_lo
	v_add_co_u32 v7, vcc_lo, v5, s6
	v_add_co_ci_u32_e32 v8, vcc_lo, s7, v6, vcc_lo
	global_load_dword v3, v[5:6], off
	v_add_co_u32 v9, vcc_lo, v7, s6
	v_add_co_ci_u32_e32 v10, vcc_lo, s7, v8, vcc_lo
	global_load_dword v5, v[7:8], off
	s_clause 0x4
	global_load_dword v75, v45, s[0:1] offset:264
	global_load_dword v77, v[13:14], off offset:1120
	global_load_dword v76, v[13:14], off offset:1912
	global_load_dword v74, v45, s[0:1] offset:1056
	global_load_dword v73, v45, s[0:1] offset:1848
	v_mad_u64_u32 v[11:12], null, 0xfffff190, s12, v[9:10]
	global_load_dword v7, v[9:10], off
	v_add_nc_u32_e32 v12, s8, v12
	v_add_co_u32 v8, vcc_lo, v11, s6
	v_add_co_ci_u32_e32 v9, vcc_lo, s7, v12, vcc_lo
	v_add_co_u32 v10, vcc_lo, v8, s6
	global_load_dword v6, v[11:12], off
	v_add_co_ci_u32_e32 v11, vcc_lo, s7, v9, vcc_lo
	v_add_co_u32 v17, vcc_lo, v10, s6
	global_load_dword v8, v[8:9], off
	;; [unrolled: 3-line block ×3, first 2 shown]
	v_add_co_ci_u32_e32 v20, vcc_lo, s7, v18, vcc_lo
	v_add_co_u32 v21, vcc_lo, v19, s6
	s_clause 0x1
	global_load_dword v68, v45, s[0:1] offset:1320
	global_load_dword v72, v[13:14], off offset:592
	global_load_dword v12, v[17:18], off
	v_add_co_ci_u32_e32 v22, vcc_lo, s7, v20, vcc_lo
	v_add_co_u32 v23, vcc_lo, 0x1000, v15
	global_load_dword v69, v45, s[0:1] offset:528
	v_mad_u64_u32 v[17:18], null, 0xfffff190, s12, v[21:22]
	global_load_dword v10, v[19:20], off
	global_load_dword v71, v[13:14], off offset:1384
	v_add_co_ci_u32_e32 v24, vcc_lo, 0, v24, vcc_lo
	v_add_nc_u32_e32 v18, s8, v18
	global_load_dword v11, v[21:22], off
	s_clause 0x2
	global_load_dword v70, v[23:24], off offset:128
	global_load_dword v65, v[13:14], off offset:1648
	;; [unrolled: 1-line block ×3, first 2 shown]
	global_load_dword v15, v[17:18], off
	v_add_co_u32 v17, vcc_lo, v17, s6
	global_load_dword v67, v[13:14], off offset:64
	v_add_co_ci_u32_e32 v18, vcc_lo, s7, v18, vcc_lo
	v_add_co_u32 v13, vcc_lo, v17, s6
	v_add_co_ci_u32_e32 v14, vcc_lo, s7, v18, vcc_lo
	global_load_dword v19, v[17:18], off
	v_add_co_u32 v17, vcc_lo, v13, s6
	v_add_co_ci_u32_e32 v18, vcc_lo, s7, v14, vcc_lo
	global_load_dword v20, v[13:14], off
	;; [unrolled: 3-line block ×4, first 2 shown]
	global_load_dword v17, v[17:18], off
	global_load_dword v64, v[23:24], off offset:392
	v_mul_hi_u32 v13, 0xaaaaaaab, v16
	s_load_dwordx4 s[8:11], s[10:11], 0x0
	v_mul_lo_u16 v23, v0, 6
	v_cmp_gt_u16_e32 vcc_lo, 42, v0
	v_lshrrev_b32_e32 v13, 1, v13
	v_lshl_add_u32 v13, v13, 1, v13
	v_sub_nc_u32_e32 v13, v16, v13
	v_mul_u32_u24_e32 v46, 0x4a4, v13
	v_lshlrev_b32_e32 v84, 2, v46
	v_add_nc_u32_e32 v83, v45, v84
	v_add_nc_u32_e32 v14, 0x400, v83
	;; [unrolled: 1-line block ×6, first 2 shown]
	s_waitcnt vmcnt(31)
	v_lshrrev_b32_e32 v18, 16, v4
	v_mul_f16_sdwa v24, v82, v4 dst_sel:DWORD dst_unused:UNUSED_PAD src0_sel:WORD_1 src1_sel:DWORD
	v_mul_f16_sdwa v25, v82, v18 dst_sel:DWORD dst_unused:UNUSED_PAD src0_sel:WORD_1 src1_sel:DWORD
	s_waitcnt vmcnt(30)
	v_lshrrev_b32_e32 v28, 16, v2
	v_mul_f16_sdwa v30, v81, v2 dst_sel:DWORD dst_unused:UNUSED_PAD src0_sel:WORD_1 src1_sel:DWORD
	v_fma_f16 v18, v82, v18, -v24
	s_waitcnt vmcnt(29)
	v_lshrrev_b32_e32 v24, 16, v1
	v_fmac_f16_e32 v25, v82, v4
	v_mul_f16_sdwa v4, v81, v28 dst_sel:DWORD dst_unused:UNUSED_PAD src0_sel:WORD_1 src1_sel:DWORD
	v_fma_f16 v28, v81, v28, -v30
	v_mul_f16_sdwa v30, v79, v1 dst_sel:DWORD dst_unused:UNUSED_PAD src0_sel:WORD_1 src1_sel:DWORD
	v_pack_b32_f16 v18, v25, v18
	v_fmac_f16_e32 v4, v81, v2
	v_mul_f16_sdwa v2, v79, v24 dst_sel:DWORD dst_unused:UNUSED_PAD src0_sel:WORD_1 src1_sel:DWORD
	s_waitcnt vmcnt(28)
	v_lshrrev_b32_e32 v25, 16, v3
	v_fma_f16 v24, v79, v24, -v30
	v_mul_f16_sdwa v30, v78, v3 dst_sel:DWORD dst_unused:UNUSED_PAD src0_sel:WORD_1 src1_sel:DWORD
	v_pack_b32_f16 v4, v4, v28
	v_fmac_f16_e32 v2, v79, v1
	s_waitcnt vmcnt(27)
	v_lshrrev_b32_e32 v28, 16, v5
	v_mul_f16_sdwa v1, v78, v25 dst_sel:DWORD dst_unused:UNUSED_PAD src0_sel:WORD_1 src1_sel:DWORD
	v_fma_f16 v25, v78, v25, -v30
	s_waitcnt vmcnt(25)
	v_mul_f16_sdwa v30, v77, v5 dst_sel:DWORD dst_unused:UNUSED_PAD src0_sel:WORD_1 src1_sel:DWORD
	ds_write_b32 v83, v4 offset:792
	v_pack_b32_f16 v2, v2, v24
	v_mul_f16_sdwa v4, v77, v28 dst_sel:DWORD dst_unused:UNUSED_PAD src0_sel:WORD_1 src1_sel:DWORD
	s_waitcnt vmcnt(21)
	v_lshrrev_b32_e32 v24, 16, v7
	v_fmac_f16_e32 v1, v78, v3
	v_fma_f16 v3, v77, v28, -v30
	v_mul_f16_sdwa v28, v76, v7 dst_sel:DWORD dst_unused:UNUSED_PAD src0_sel:WORD_1 src1_sel:DWORD
	v_fmac_f16_e32 v4, v77, v5
	v_mul_f16_sdwa v5, v76, v24 dst_sel:DWORD dst_unused:UNUSED_PAD src0_sel:WORD_1 src1_sel:DWORD
	ds_write_b32 v83, v2 offset:1584
	v_pack_b32_f16 v1, v1, v25
	v_fma_f16 v2, v76, v24, -v28
	v_pack_b32_f16 v3, v4, v3
	v_fmac_f16_e32 v5, v76, v7
	ds_write_b32 v83, v1 offset:2376
	s_waitcnt vmcnt(20)
	v_lshrrev_b32_e32 v4, 16, v6
	v_mul_f16_sdwa v1, v75, v6 dst_sel:DWORD dst_unused:UNUSED_PAD src0_sel:WORD_1 src1_sel:DWORD
	ds_write_b32 v83, v3 offset:3168
	v_pack_b32_f16 v2, v5, v2
	v_mul_f16_sdwa v3, v75, v4 dst_sel:DWORD dst_unused:UNUSED_PAD src0_sel:WORD_1 src1_sel:DWORD
	s_waitcnt vmcnt(19)
	v_lshrrev_b32_e32 v5, 16, v8
	v_fma_f16 v1, v75, v4, -v1
	v_mul_f16_sdwa v4, v74, v8 dst_sel:DWORD dst_unused:UNUSED_PAD src0_sel:WORD_1 src1_sel:DWORD
	ds_write_b32 v83, v2 offset:3960
	v_fmac_f16_e32 v3, v75, v6
	v_mul_f16_sdwa v2, v74, v5 dst_sel:DWORD dst_unused:UNUSED_PAD src0_sel:WORD_1 src1_sel:DWORD
	s_waitcnt vmcnt(18)
	v_lshrrev_b32_e32 v6, 16, v9
	v_mul_f16_sdwa v7, v73, v9 dst_sel:DWORD dst_unused:UNUSED_PAD src0_sel:WORD_1 src1_sel:DWORD
	v_fma_f16 v4, v74, v5, -v4
	v_pack_b32_f16 v1, v3, v1
	v_fmac_f16_e32 v2, v74, v8
	v_mul_f16_sdwa v3, v73, v6 dst_sel:DWORD dst_unused:UNUSED_PAD src0_sel:WORD_1 src1_sel:DWORD
	v_fma_f16 v5, v73, v6, -v7
	s_waitcnt vmcnt(15)
	v_lshrrev_b32_e32 v6, 16, v12
	v_mul_f16_sdwa v7, v72, v12 dst_sel:DWORD dst_unused:UNUSED_PAD src0_sel:WORD_1 src1_sel:DWORD
	ds_write2_b32 v83, v18, v1 offset1:66
	v_pack_b32_f16 v1, v2, v4
	v_fmac_f16_e32 v3, v73, v9
	v_mul_f16_sdwa v2, v72, v6 dst_sel:DWORD dst_unused:UNUSED_PAD src0_sel:WORD_1 src1_sel:DWORD
	v_fma_f16 v4, v72, v6, -v7
	s_waitcnt vmcnt(13)
	v_lshrrev_b32_e32 v6, 16, v10
	s_waitcnt vmcnt(12)
	v_mul_f16_sdwa v7, v71, v10 dst_sel:DWORD dst_unused:UNUSED_PAD src0_sel:WORD_1 src1_sel:DWORD
	v_pack_b32_f16 v3, v3, v5
	v_fmac_f16_e32 v2, v72, v12
	s_waitcnt vmcnt(11)
	v_lshrrev_b32_e32 v5, 16, v11
	v_mul_f16_sdwa v8, v71, v6 dst_sel:DWORD dst_unused:UNUSED_PAD src0_sel:WORD_1 src1_sel:DWORD
	v_fma_f16 v6, v71, v6, -v7
	s_waitcnt vmcnt(10)
	v_mul_f16_sdwa v7, v70, v11 dst_sel:DWORD dst_unused:UNUSED_PAD src0_sel:WORD_1 src1_sel:DWORD
	v_pack_b32_f16 v2, v2, v4
	s_waitcnt vmcnt(7)
	v_lshrrev_b32_e32 v4, 16, v15
	v_fmac_f16_e32 v8, v71, v10
	v_mul_f16_sdwa v9, v70, v5 dst_sel:DWORD dst_unused:UNUSED_PAD src0_sel:WORD_1 src1_sel:DWORD
	v_fma_f16 v5, v70, v5, -v7
	v_mul_f16_sdwa v7, v69, v15 dst_sel:DWORD dst_unused:UNUSED_PAD src0_sel:WORD_1 src1_sel:DWORD
	v_pack_b32_f16 v6, v8, v6
	v_mul_f16_sdwa v8, v69, v4 dst_sel:DWORD dst_unused:UNUSED_PAD src0_sel:WORD_1 src1_sel:DWORD
	v_fmac_f16_e32 v9, v70, v11
	v_fma_f16 v4, v69, v4, -v7
	s_waitcnt vmcnt(5)
	v_lshrrev_b32_e32 v10, 16, v19
	v_mul_f16_sdwa v7, v68, v19 dst_sel:DWORD dst_unused:UNUSED_PAD src0_sel:WORD_1 src1_sel:DWORD
	v_fmac_f16_e32 v8, v69, v15
	s_waitcnt vmcnt(4)
	v_lshrrev_b32_e32 v11, 16, v20
	v_mul_f16_sdwa v12, v67, v20 dst_sel:DWORD dst_unused:UNUSED_PAD src0_sel:WORD_1 src1_sel:DWORD
	v_pack_b32_f16 v5, v9, v5
	v_mul_f16_sdwa v9, v68, v10 dst_sel:DWORD dst_unused:UNUSED_PAD src0_sel:WORD_1 src1_sel:DWORD
	v_pack_b32_f16 v4, v8, v4
	v_fma_f16 v7, v68, v10, -v7
	v_mul_f16_sdwa v8, v67, v11 dst_sel:DWORD dst_unused:UNUSED_PAD src0_sel:WORD_1 src1_sel:DWORD
	v_fma_f16 v10, v67, v11, -v12
	s_waitcnt vmcnt(3)
	v_lshrrev_b32_e32 v11, 16, v21
	v_mul_f16_sdwa v12, v66, v21 dst_sel:DWORD dst_unused:UNUSED_PAD src0_sel:WORD_1 src1_sel:DWORD
	ds_write_b32 v83, v4 offset:528
	s_waitcnt vmcnt(2)
	v_lshrrev_b32_e32 v4, 16, v22
	s_waitcnt vmcnt(1)
	v_lshrrev_b32_e32 v18, 16, v17
	v_mul_f16_sdwa v15, v66, v11 dst_sel:DWORD dst_unused:UNUSED_PAD src0_sel:WORD_1 src1_sel:DWORD
	v_fmac_f16_e32 v9, v68, v19
	v_fma_f16 v11, v66, v11, -v12
	v_mul_f16_sdwa v12, v65, v22 dst_sel:DWORD dst_unused:UNUSED_PAD src0_sel:WORD_1 src1_sel:DWORD
	v_mul_f16_sdwa v19, v65, v4 dst_sel:DWORD dst_unused:UNUSED_PAD src0_sel:WORD_1 src1_sel:DWORD
	v_fmac_f16_e32 v8, v67, v20
	s_waitcnt vmcnt(0)
	v_mul_f16_sdwa v20, v64, v17 dst_sel:DWORD dst_unused:UNUSED_PAD src0_sel:WORD_1 src1_sel:DWORD
	v_mul_f16_sdwa v24, v64, v18 dst_sel:DWORD dst_unused:UNUSED_PAD src0_sel:WORD_1 src1_sel:DWORD
	v_fmac_f16_e32 v15, v66, v21
	v_fma_f16 v4, v65, v4, -v12
	v_fmac_f16_e32 v19, v65, v22
	v_fma_f16 v12, v64, v18, -v20
	v_fmac_f16_e32 v24, v64, v17
	v_pack_b32_f16 v7, v9, v7
	v_pack_b32_f16 v8, v8, v10
	;; [unrolled: 1-line block ×5, first 2 shown]
	ds_write2_b32 v14, v1, v7 offset0:8 offset1:74
	ds_write2_b32 v13, v3, v8 offset0:78 offset1:144
	;; [unrolled: 1-line block ×5, first 2 shown]
	s_waitcnt lgkmcnt(0)
	s_barrier
	buffer_gl0_inv
	ds_read2_b32 v[1:2], v83 offset0:132 offset1:198
	ds_read2_b32 v[3:4], v14 offset0:8 offset1:74
	;; [unrolled: 1-line block ×6, first 2 shown]
	ds_read2_b32 v[17:18], v83 offset1:66
	ds_read2_b32 v[19:20], v14 offset0:140 offset1:206
	ds_read2_b32 v[21:22], v27 offset0:24 offset1:90
	v_and_b32_e32 v15, 0xffff, v23
	v_mul_u32_u24_e32 v23, 6, v43
	v_mul_u32_u24_e32 v24, 6, v42
	s_waitcnt lgkmcnt(0)
	s_barrier
	v_lshl_add_u32 v52, v15, 2, v84
	v_lshl_add_u32 v56, v23, 2, v84
	;; [unrolled: 1-line block ×3, first 2 shown]
	v_add_nc_u32_e32 v15, 0x200, v83
	buffer_gl0_inv
	v_pk_add_f16 v23, v1, v5
	v_pk_add_f16 v24, v4, v8
	;; [unrolled: 1-line block ×8, first 2 shown]
	v_pk_add_f16 v19, v19, v21 neg_lo:[0,1] neg_hi:[0,1]
	v_pk_add_f16 v34, v20, v22
	v_pk_add_f16 v20, v20, v22 neg_lo:[0,1] neg_hi:[0,1]
	v_pk_add_f16 v25, v5, v9
	v_pk_add_f16 v35, v2, v6
	v_pk_add_f16 v5, v5, v9 neg_lo:[0,1] neg_hi:[0,1]
	v_pk_add_f16 v6, v6, v10 neg_lo:[0,1] neg_hi:[0,1]
	v_pk_fma_f16 v2, v36, 0.5, v2 op_sel_hi:[1,0,1] neg_lo:[1,0,0] neg_hi:[1,0,0]
	v_pk_add_f16 v8, v8, v12 neg_lo:[0,1] neg_hi:[0,1]
	v_pk_add_f16 v30, v3, v7
	v_pk_add_f16 v7, v7, v11 neg_lo:[0,1] neg_hi:[0,1]
	v_pk_fma_f16 v4, v28, 0.5, v4 op_sel_hi:[1,0,1] neg_lo:[1,0,0] neg_hi:[1,0,0]
	v_pk_fma_f16 v17, v33, 0.5, v17 op_sel_hi:[1,0,1] neg_lo:[1,0,0] neg_hi:[1,0,0]
	v_pk_mul_f16 v19, 0x3aee, v19 op_sel_hi:[0,1]
	v_pk_fma_f16 v18, v34, 0.5, v18 op_sel_hi:[1,0,1] neg_lo:[1,0,0] neg_hi:[1,0,0]
	v_pk_mul_f16 v20, 0x3aee, v20 op_sel_hi:[0,1]
	v_pk_fma_f16 v3, v32, 0.5, v3 op_sel_hi:[1,0,1] neg_lo:[1,0,0] neg_hi:[1,0,0]
	v_pk_add_f16 v12, v24, v12
	v_pk_add_f16 v21, v31, v21
	;; [unrolled: 1-line block ×4, first 2 shown]
	v_pk_fma_f16 v1, v25, 0.5, v1 op_sel_hi:[1,0,1] neg_lo:[1,0,0] neg_hi:[1,0,0]
	v_pk_mul_f16 v5, 0x3aee, v5 op_sel_hi:[0,1]
	v_pk_fma_f16 v23, 0x3aee, v6, v2 op_sel:[0,0,1] op_sel_hi:[0,1,0]
	v_pk_fma_f16 v2, 0x3aee, v6, v2 op_sel:[0,0,1] op_sel_hi:[0,1,0] neg_lo:[0,1,0] neg_hi:[0,1,0]
	v_pk_add_f16 v11, v30, v11
	v_pk_fma_f16 v25, 0x3aee, v8, v4 op_sel:[0,0,1] op_sel_hi:[0,1,0]
	v_pk_fma_f16 v6, 0x3aee, v8, v4 op_sel:[0,0,1] op_sel_hi:[0,1,0] neg_lo:[0,1,0] neg_hi:[0,1,0]
	v_pk_add_f16 v30, v17, v19 op_sel:[0,1] op_sel_hi:[1,0]
	v_pk_add_f16 v17, v17, v19 op_sel:[0,1] op_sel_hi:[1,0] neg_lo:[0,1] neg_hi:[0,1]
	v_pk_add_f16 v19, v18, v20 op_sel:[0,1] op_sel_hi:[1,0]
	v_pk_add_f16 v18, v18, v20 op_sel:[0,1] op_sel_hi:[1,0] neg_lo:[0,1] neg_hi:[0,1]
	v_pk_fma_f16 v20, 0x3aee, v7, v3 op_sel:[0,0,1] op_sel_hi:[0,1,0]
	v_pk_fma_f16 v3, 0x3aee, v7, v3 op_sel:[0,0,1] op_sel_hi:[0,1,0] neg_lo:[0,1,0] neg_hi:[0,1,0]
	v_pk_add_f16 v22, v29, v22
	v_pk_add_f16 v28, v1, v5 op_sel:[0,1] op_sel_hi:[1,0]
	v_pk_add_f16 v29, v1, v5 op_sel:[0,1] op_sel_hi:[1,0] neg_lo:[0,1] neg_hi:[0,1]
	v_pk_add_f16 v1, v21, v10
	v_pk_add_f16 v4, v21, v10 neg_lo:[0,1] neg_hi:[0,1]
	v_pk_add_f16 v31, v9, v12
	v_pk_add_f16 v24, v9, v12 neg_lo:[0,1] neg_hi:[0,1]
	v_lshrrev_b32_e32 v7, 16, v23
	v_mul_f16_e32 v9, 0x3aee, v2
	v_bfi_b32 v10, 0xffff, v23, v2
	v_bfi_b32 v12, 0xffff, v25, v6
	v_lshrrev_b32_e32 v21, 16, v25
	v_lshrrev_b32_e32 v23, 16, v20
	v_mul_f16_e32 v25, 0x3aee, v3
	v_bfi_b32 v20, 0xffff, v20, v3
	v_pk_add_f16 v5, v22, v11
	v_pk_add_f16 v8, v22, v11 neg_lo:[0,1] neg_hi:[0,1]
	v_mul_f16_e32 v22, 0x3aee, v6
	v_mul_f16_e32 v34, 0xbaee, v7
	v_fmac_f16_e32 v9, 0.5, v7
	v_pk_mul_f16 v7, v10, 0.5 op_sel_hi:[1,0]
	v_pk_mul_f16 v35, v12, 0.5 op_sel_hi:[1,0]
	v_fmac_f16_e32 v25, 0.5, v23
	v_mul_f16_e32 v23, 0xbaee, v23
	v_pk_mul_f16 v36, v20, 0.5 op_sel_hi:[1,0]
	v_fmac_f16_e32 v22, 0.5, v21
	v_mul_f16_e32 v21, 0xbaee, v21
	v_bfi_b32 v11, 0xffff, v17, v30
	v_fmac_f16_e32 v34, 0.5, v2
	v_pk_fma_f16 v7, 0xbaee3aee, v10, v7 op_sel:[0,0,1] op_sel_hi:[1,1,0] neg_lo:[0,0,1] neg_hi:[0,0,1]
	v_pk_fma_f16 v10, 0xbaee3aee, v12, v35 op_sel:[0,0,1] op_sel_hi:[1,1,0] neg_lo:[0,0,1] neg_hi:[0,0,1]
	v_fmac_f16_e32 v23, 0.5, v3
	v_pk_fma_f16 v12, 0xbaee3aee, v20, v36 op_sel:[0,0,1] op_sel_hi:[1,1,0] neg_lo:[0,0,1] neg_hi:[0,0,1]
	v_bfi_b32 v32, 0xffff, v18, v19
	v_fmac_f16_e32 v21, 0.5, v6
	v_pk_add_f16 v3, v11, v7
	v_pack_b32_f16 v11, v34, v7
	v_add_f16_e32 v6, v19, v25
	v_sub_f16_e32 v20, v19, v25
	v_add_f16_e32 v25, v28, v22
	v_sub_f16_e32 v35, v28, v22
	v_add_f16_sdwa v22, v17, v34 dst_sel:DWORD dst_unused:UNUSED_PAD src0_sel:WORD_1 src1_sel:DWORD
	v_add_f16_sdwa v34, v18, v23 dst_sel:DWORD dst_unused:UNUSED_PAD src0_sel:WORD_1 src1_sel:DWORD
	v_pack_b32_f16 v23, v23, v12
	v_add_f16_e32 v2, v30, v9
	v_sub_f16_e32 v9, v30, v9
	v_sub_f16_sdwa v30, v30, v7 dst_sel:DWORD dst_unused:UNUSED_PAD src0_sel:WORD_1 src1_sel:WORD_1
	v_pk_add_f16 v7, v32, v12
	v_sub_f16_sdwa v44, v19, v12 dst_sel:DWORD dst_unused:UNUSED_PAD src0_sel:WORD_1 src1_sel:WORD_1
	v_pack_b32_f16 v12, v21, v10
	v_bfi_b32 v33, 0xffff, v29, v28
	v_pk_add_f16 v11, v17, v11 op_sel:[1,0] op_sel_hi:[0,1] neg_lo:[0,1] neg_hi:[0,1]
	v_pk_add_f16 v17, v18, v23 op_sel:[1,0] op_sel_hi:[0,1] neg_lo:[0,1] neg_hi:[0,1]
	v_sub_f16_sdwa v89, v29, v21 dst_sel:DWORD dst_unused:UNUSED_PAD src0_sel:WORD_1 src1_sel:DWORD
	v_add_f16_sdwa v90, v28, v10 dst_sel:DWORD dst_unused:UNUSED_PAD src0_sel:WORD_1 src1_sel:WORD_1
	v_pk_add_f16 v91, v29, v12 op_sel:[1,0] op_sel_hi:[0,1]
	v_pack_b32_f16 v2, v2, v22
	v_pk_add_f16 v38, v33, v10 neg_lo:[0,1] neg_hi:[0,1]
	v_alignbit_b32 v10, v30, v11, 16
	v_pack_b32_f16 v9, v9, v11
	v_pack_b32_f16 v6, v6, v34
	v_alignbit_b32 v12, v44, v17, 16
	v_pack_b32_f16 v11, v20, v17
	v_pack_b32_f16 v37, v35, v89
	v_alignbit_b32 v23, v90, v91, 16
	v_pack_b32_f16 v32, v25, v91
	ds_write2_b64 v52, v[1:2], v[3:4] offset1:1
	ds_write_b64 v52, v[9:10] offset:16
	ds_write2_b64 v56, v[5:6], v[7:8] offset1:1
	ds_write_b64 v56, v[11:12] offset:16
	;; [unrolled: 2-line block ×3, first 2 shown]
	s_waitcnt lgkmcnt(0)
	s_barrier
	buffer_gl0_inv
	ds_read2_b32 v[32:33], v15 offset0:88 offset1:196
	ds_read2_b32 v[29:30], v26 offset0:136 offset1:244
	;; [unrolled: 1-line block ×3, first 2 shown]
	ds_read_b32 v60, v83 offset:4320
	ds_read2_b32 v[21:22], v83 offset1:108
	ds_read2_b32 v[36:37], v13 offset0:48 offset1:156
	v_lshrrev_b32_e32 v23, 16, v17
	v_lshrrev_b32_e32 v26, 16, v91
	s_and_saveexec_b32 s6, vcc_lo
	s_cbranch_execz .LBB0_3
; %bb.2:
	v_add_nc_u32_e32 v0, 0xa00, v83
	v_add_nc_u32_e32 v1, 0xe00, v83
	ds_read2_b32 v[23:24], v83 offset0:66 offset1:174
	ds_read2_b32 v[25:26], v14 offset0:26 offset1:134
	;; [unrolled: 1-line block ×3, first 2 shown]
	ds_read_b32 v92, v83 offset:4584
	ds_read2_b32 v[38:39], v0 offset0:74 offset1:182
	ds_read2_b32 v[40:41], v1 offset0:34 offset1:142
	s_waitcnt lgkmcnt(3)
	v_lshrrev_b32_e32 v89, 16, v35
	v_lshrrev_b32_e32 v44, 16, v23
	;; [unrolled: 1-line block ×4, first 2 shown]
	s_waitcnt lgkmcnt(2)
	v_lshrrev_b32_e32 v93, 16, v92
	v_mov_b32_e32 v31, v24
	s_waitcnt lgkmcnt(1)
	v_lshrrev_b32_e32 v94, 16, v39
	s_waitcnt lgkmcnt(0)
	v_lshrrev_b32_e32 v95, 16, v40
	v_lshrrev_b32_e32 v96, 16, v41
	v_mov_b32_e32 v24, v34
.LBB0_3:
	s_or_b32 exec_lo, exec_lo, s6
	v_and_b32_e32 v0, 0xff, v80
	v_and_b32_e32 v1, 0xff, v43
	v_mov_b32_e32 v34, 0x42
	s_waitcnt lgkmcnt(2)
	v_lshrrev_b32_e32 v61, 16, v60
	s_waitcnt lgkmcnt(1)
	v_lshrrev_b32_e32 v62, 16, v22
	v_mul_lo_u16 v0, 0xab, v0
	v_mul_lo_u16 v1, 0xab, v1
	v_lshrrev_b32_e32 v97, 16, v31
	v_lshrrev_b32_e32 v102, 16, v32
	;; [unrolled: 1-line block ×3, first 2 shown]
	v_lshrrev_b16 v47, 10, v0
	v_lshrrev_b16 v85, 10, v1
	v_mov_b32_e32 v1, 10
	v_lshrrev_b32_e32 v115, 16, v28
	v_lshrrev_b32_e32 v99, 16, v24
	v_mul_lo_u16 v0, v47, 6
	v_mul_lo_u16 v2, v85, 6
	v_mul_u32_u24_sdwa v47, v47, v34 dst_sel:DWORD dst_unused:UNUSED_PAD src0_sel:WORD_0 src1_sel:DWORD
	v_lshrrev_b32_e32 v104, 16, v33
	s_waitcnt lgkmcnt(0)
	v_lshrrev_b32_e32 v105, 16, v36
	v_sub_nc_u16 v48, v80, v0
	v_sub_nc_u16 v86, v43, v2
	v_lshrrev_b32_e32 v100, 16, v38
	v_lshrrev_b32_e32 v106, 16, v37
	;; [unrolled: 1-line block ×3, first 2 shown]
	v_mul_u32_u24_sdwa v0, v48, v1 dst_sel:DWORD dst_unused:UNUSED_PAD src0_sel:BYTE_0 src1_sel:DWORD
	v_mul_u32_u24_sdwa v1, v86, v1 dst_sel:DWORD dst_unused:UNUSED_PAD src0_sel:BYTE_0 src1_sel:DWORD
	v_add_nc_u32_sdwa v47, v47, v48 dst_sel:DWORD dst_unused:UNUSED_PAD src0_sel:DWORD src1_sel:BYTE_0
	v_lshrrev_b32_e32 v107, 16, v29
	v_lshlrev_b32_e32 v12, 2, v0
	v_lshlrev_b32_e32 v13, 2, v1
	v_lshl_add_u32 v87, v47, 2, v84
	s_clause 0x5
	global_load_dwordx2 v[19:20], v12, s[2:3] offset:32
	global_load_dwordx4 v[8:11], v12, s[2:3]
	global_load_dwordx4 v[0:3], v13, s[2:3]
	global_load_dwordx4 v[4:7], v13, s[2:3] offset:16
	global_load_dwordx2 v[17:18], v13, s[2:3] offset:32
	global_load_dwordx4 v[12:15], v12, s[2:3] offset:16
	s_waitcnt vmcnt(0)
	s_barrier
	buffer_gl0_inv
	v_mul_f16_sdwa v63, v61, v20 dst_sel:DWORD dst_unused:UNUSED_PAD src0_sel:DWORD src1_sel:WORD_1
	v_mul_f16_sdwa v98, v60, v20 dst_sel:DWORD dst_unused:UNUSED_PAD src0_sel:DWORD src1_sel:WORD_1
	;; [unrolled: 1-line block ×15, first 2 shown]
	v_fma_f16 v101, v60, v20, -v63
	v_fmac_f16_e32 v98, v61, v20
	v_fmac_f16_e32 v116, v62, v8
	v_fma_f16 v22, v22, v8, -v88
	v_mul_f16_sdwa v58, v25, v1 dst_sel:DWORD dst_unused:UNUSED_PAD src0_sel:DWORD src1_sel:WORD_1
	v_mul_f16_sdwa v118, v99, v3 dst_sel:DWORD dst_unused:UNUSED_PAD src0_sel:DWORD src1_sel:WORD_1
	;; [unrolled: 1-line block ×6, first 2 shown]
	v_fma_f16 v88, v31, v0, -v110
	v_fma_f16 v63, v25, v1, -v112
	;; [unrolled: 1-line block ×3, first 2 shown]
	v_fmac_f16_e32 v59, v97, v0
	v_fmac_f16_e32 v47, v93, v18
	v_fma_f16 v117, v32, v9, -v125
	v_fma_f16 v112, v27, v15, -v135
	;; [unrolled: 1-line block ×3, first 2 shown]
	v_fmac_f16_e32 v127, v102, v9
	v_fmac_f16_e32 v103, v115, v19
	;; [unrolled: 1-line block ×3, first 2 shown]
	v_sub_f16_e32 v27, v116, v98
	v_add_f16_e32 v114, v22, v101
	v_sub_f16_e32 v28, v22, v101
	v_add_f16_e32 v115, v116, v98
	v_add_f16_e32 v22, v21, v22
	v_add_f16_sdwa v116, v21, v116 dst_sel:DWORD dst_unused:UNUSED_PAD src0_sel:WORD_1 src1_sel:DWORD
	v_mul_f16_sdwa v57, v26, v2 dst_sel:DWORD dst_unused:UNUSED_PAD src0_sel:DWORD src1_sel:WORD_1
	v_mul_f16_sdwa v119, v89, v4 dst_sel:DWORD dst_unused:UNUSED_PAD src0_sel:DWORD src1_sel:WORD_1
	;; [unrolled: 1-line block ×7, first 2 shown]
	v_fma_f16 v61, v24, v3, -v118
	v_fmac_f16_e32 v58, v91, v1
	v_fmac_f16_e32 v48, v96, v17
	v_fma_f16 v26, v92, v18, -v124
	v_fma_f16 v118, v33, v10, -v126
	v_fmac_f16_e32 v128, v104, v10
	v_sub_f16_e32 v97, v59, v47
	v_add_f16_e32 v22, v22, v117
	v_add_f16_e32 v116, v116, v127
	v_mul_f16_sdwa v54, v24, v3 dst_sel:DWORD dst_unused:UNUSED_PAD src0_sel:DWORD src1_sel:WORD_1
	v_mul_f16_sdwa v120, v100, v5 dst_sel:DWORD dst_unused:UNUSED_PAD src0_sel:DWORD src1_sel:WORD_1
	;; [unrolled: 1-line block ×9, first 2 shown]
	v_fma_f16 v60, v35, v4, -v119
	v_fma_f16 v25, v40, v7, -v122
	;; [unrolled: 1-line block ×3, first 2 shown]
	v_fmac_f16_e32 v57, v90, v2
	v_fmac_f16_e32 v49, v95, v7
	v_fma_f16 v119, v36, v11, -v129
	v_fmac_f16_e32 v131, v105, v11
	v_add_f16_e32 v92, v88, v26
	v_sub_f16_e32 v96, v58, v48
	v_sub_f16_e32 v123, v127, v103
	;; [unrolled: 1-line block ×3, first 2 shown]
	v_mul_f16_e32 v135, 0xb853, v27
	v_mul_f16_e32 v136, 0xbb47, v27
	v_mul_f16_e32 v137, 0xbbeb, v27
	v_mul_f16_e32 v138, 0xba0c, v27
	v_mul_f16_e32 v139, 0xb482, v27
	v_mul_f16_e32 v140, 0xb853, v28
	v_mul_f16_e32 v141, 0xbb47, v28
	v_mul_f16_e32 v142, 0xbbeb, v28
	v_mul_f16_e32 v143, 0xba0c, v28
	v_mul_f16_e32 v144, 0xb482, v28
	v_mul_f16_e32 v36, 0xbb47, v97
	v_mul_f16_e32 v40, 0xbbeb, v97
	v_add_f16_e32 v22, v22, v118
	v_add_f16_e32 v116, v116, v128
	v_mul_f16_sdwa v53, v35, v4 dst_sel:DWORD dst_unused:UNUSED_PAD src0_sel:DWORD src1_sel:WORD_1
	v_mul_f16_sdwa v51, v38, v5 dst_sel:DWORD dst_unused:UNUSED_PAD src0_sel:DWORD src1_sel:WORD_1
	;; [unrolled: 1-line block ×3, first 2 shown]
	v_fma_f16 v35, v38, v5, -v120
	v_fma_f16 v31, v39, v6, -v121
	v_fmac_f16_e32 v54, v99, v3
	v_fmac_f16_e32 v50, v94, v6
	v_fma_f16 v120, v37, v12, -v130
	v_fma_f16 v122, v30, v14, -v134
	v_fmac_f16_e32 v132, v106, v12
	v_fmac_f16_e32 v111, v107, v13
	;; [unrolled: 1-line block ×3, first 2 shown]
	v_add_f16_e32 v91, v63, v24
	v_sub_f16_e32 v95, v57, v49
	v_add_f16_e32 v107, v117, v110
	v_add_f16_e32 v106, v127, v103
	v_sub_f16_e32 v125, v128, v108
	v_add_f16_e32 v105, v118, v112
	v_sub_f16_e32 v126, v118, v112
	v_mul_f16_e32 v33, 0xba0c, v96
	v_mul_f16_e32 v39, 0x3482, v96
	;; [unrolled: 1-line block ×6, first 2 shown]
	v_fma_f16 v174, v114, 0x3abb, -v135
	v_fmac_f16_e32 v135, 0x3abb, v114
	v_fma_f16 v175, v114, 0x36a6, -v136
	v_fmac_f16_e32 v136, 0x36a6, v114
	;; [unrolled: 2-line block ×5, first 2 shown]
	v_fmamk_f16 v114, v115, 0x3abb, v140
	v_fma_f16 v140, v115, 0x3abb, -v140
	v_fmamk_f16 v179, v115, 0x36a6, v141
	v_fma_f16 v141, v115, 0x36a6, -v141
	;; [unrolled: 2-line block ×5, first 2 shown]
	v_fmamk_f16 v144, v92, 0x36a6, v36
	v_fmamk_f16 v118, v92, 0xb08e, v40
	v_add_f16_e32 v22, v22, v119
	v_add_f16_e32 v116, v116, v131
	v_mul_f16_e32 v160, 0x3beb, v123
	v_mul_f16_e32 v161, 0x3beb, v124
	;; [unrolled: 1-line block ×4, first 2 shown]
	v_fmac_f16_e32 v53, v89, v4
	v_fmac_f16_e32 v51, v100, v5
	v_fma_f16 v121, v29, v13, -v133
	v_add_f16_e32 v90, v62, v25
	v_sub_f16_e32 v94, v54, v50
	v_add_f16_e32 v104, v128, v108
	v_sub_f16_e32 v129, v131, v109
	v_sub_f16_e32 v130, v119, v122
	v_mul_f16_e32 v30, 0x3482, v95
	v_mul_f16_e32 v38, 0x3b47, v95
	;; [unrolled: 1-line block ×8, first 2 shown]
	v_fmamk_f16 v128, v91, 0xb93d, v33
	v_fmamk_f16 v183, v91, 0xbbad, v39
	v_fma_f16 v184, v107, 0xb93d, -v145
	v_fmamk_f16 v185, v106, 0xb93d, v146
	v_fma_f16 v186, v107, 0xbbad, -v147
	v_fmamk_f16 v187, v106, 0xbbad, v148
	v_add_f16_e32 v175, v21, v175
	v_add_f16_sdwa v179, v21, v179 dst_sel:DWORD dst_unused:UNUSED_PAD src0_sel:WORD_1 src1_sel:DWORD
	v_add_f16_e32 v176, v21, v176
	v_add_f16_sdwa v180, v21, v180 dst_sel:DWORD dst_unused:UNUSED_PAD src0_sel:WORD_1 src1_sel:DWORD
	v_add_f16_e32 v144, v23, v144
	v_add_f16_e32 v118, v23, v118
	;; [unrolled: 1-line block ×4, first 2 shown]
	v_mul_f16_e32 v164, 0xb853, v125
	v_mul_f16_e32 v165, 0xb853, v126
	;; [unrolled: 1-line block ×4, first 2 shown]
	v_fma_f16 v188, v107, 0xb08e, -v160
	v_fmamk_f16 v189, v106, 0xb08e, v161
	v_fma_f16 v190, v107, 0x3abb, -v162
	v_fmamk_f16 v191, v106, 0x3abb, v163
	v_add_f16_e32 v177, v21, v177
	v_add_f16_sdwa v181, v21, v181 dst_sel:DWORD dst_unused:UNUSED_PAD src0_sel:WORD_1 src1_sel:DWORD
	v_add_f16_e32 v178, v21, v178
	v_add_f16_sdwa v182, v21, v182 dst_sel:DWORD dst_unused:UNUSED_PAD src0_sel:WORD_1 src1_sel:DWORD
	v_add_f16_e32 v89, v61, v31
	v_sub_f16_e32 v93, v53, v51
	v_add_f16_e32 v102, v119, v122
	v_add_f16_e32 v100, v131, v109
	v_sub_f16_e32 v133, v132, v111
	v_sub_f16_e32 v134, v120, v121
	v_add_f16_e32 v32, v132, v111
	v_mul_f16_e32 v28, 0x3beb, v94
	v_mul_f16_e32 v37, 0xb853, v94
	;; [unrolled: 1-line block ×8, first 2 shown]
	v_fma_f16 v163, v106, 0x3abb, -v163
	v_fma_f16 v192, v107, 0x36a6, -v123
	v_fmamk_f16 v193, v106, 0x36a6, v124
	v_fmamk_f16 v194, v90, 0xbbad, v30
	;; [unrolled: 1-line block ×3, first 2 shown]
	v_fma_f16 v196, v105, 0xbbad, -v149
	v_fmamk_f16 v197, v104, 0xbbad, v150
	v_fma_f16 v198, v105, 0x36a6, -v151
	v_fmamk_f16 v199, v104, 0x36a6, v152
	v_add_f16_e32 v174, v21, v174
	v_add_f16_sdwa v114, v21, v114 dst_sel:DWORD dst_unused:UNUSED_PAD src0_sel:WORD_1 src1_sel:DWORD
	v_add_f16_e32 v135, v21, v135
	v_add_f16_sdwa v140, v21, v140 dst_sel:DWORD dst_unused:UNUSED_PAD src0_sel:WORD_1 src1_sel:DWORD
	;; [unrolled: 2-line block ×6, first 2 shown]
	v_add_f16_e32 v128, v128, v144
	v_add_f16_e32 v118, v183, v118
	;; [unrolled: 1-line block ×8, first 2 shown]
	v_mul_f16_e32 v166, 0xb482, v129
	v_mul_f16_e32 v167, 0xb482, v130
	;; [unrolled: 1-line block ×4, first 2 shown]
	v_fmac_f16_e32 v160, 0xb08e, v107
	v_fmac_f16_e32 v162, 0x3abb, v107
	v_fma_f16 v200, v105, 0x3abb, -v164
	v_fmamk_f16 v201, v104, 0x3abb, v165
	v_fma_f16 v202, v105, 0xb93d, -v117
	v_fmamk_f16 v203, v104, 0xb93d, v127
	v_add_f16_e32 v177, v188, v177
	v_add_f16_e32 v181, v189, v181
	;; [unrolled: 1-line block ×6, first 2 shown]
	v_mul_f16_e32 v29, 0xba0c, v93
	v_mul_f16_e32 v157, 0x3853, v133
	;; [unrolled: 1-line block ×7, first 2 shown]
	v_fma_f16 v161, v106, 0xb08e, -v161
	v_fmamk_f16 v204, v89, 0xb08e, v28
	v_fmamk_f16 v205, v89, 0x3abb, v37
	v_fma_f16 v127, v104, 0xb93d, -v127
	v_fma_f16 v208, v105, 0xb08e, -v125
	v_fmamk_f16 v209, v104, 0xb08e, v126
	v_fma_f16 v210, v102, 0xb08e, -v153
	v_fmamk_f16 v211, v100, 0xb08e, v154
	;; [unrolled: 2-line block ×3, first 2 shown]
	v_add_f16_e32 v21, v163, v21
	v_add_f16_e32 v120, v192, v174
	;; [unrolled: 1-line block ×11, first 2 shown]
	v_mul_f16_e32 v27, 0x3853, v93
	v_mul_f16_e32 v170, 0x3b47, v133
	;; [unrolled: 1-line block ×5, first 2 shown]
	v_fmac_f16_e32 v164, 0x3abb, v105
	v_fmac_f16_e32 v117, 0xb93d, v105
	v_fma_f16 v144, v102, 0xbbad, -v166
	v_fmamk_f16 v183, v100, 0xbbad, v167
	v_fma_f16 v184, v102, 0x36a6, -v168
	v_fmamk_f16 v186, v100, 0x36a6, v169
	v_add_f16_e32 v138, v160, v138
	v_add_f16_e32 v139, v162, v139
	;; [unrolled: 1-line block ×6, first 2 shown]
	v_mul_f16_e32 v133, 0xb482, v133
	v_mul_f16_e32 v134, 0xb482, v134
	v_fma_f16 v165, v104, 0x3abb, -v165
	v_fmamk_f16 v207, v41, 0xb93d, v29
	v_fma_f16 v119, v99, 0x3abb, -v157
	v_fmamk_f16 v131, v32, 0x3abb, v113
	;; [unrolled: 2-line block ×3, first 2 shown]
	v_fma_f16 v169, v100, 0x36a6, -v169
	v_fma_f16 v160, v102, 0xb93d, -v129
	v_add_f16_e32 v143, v161, v143
	v_fmamk_f16 v161, v100, 0xb93d, v130
	v_add_f16_e32 v21, v127, v21
	v_add_f16_e32 v116, v208, v120
	;; [unrolled: 1-line block ×11, first 2 shown]
	v_fmamk_f16 v206, v41, 0x3abb, v27
	v_fma_f16 v188, v99, 0x36a6, -v170
	v_fmamk_f16 v189, v32, 0x36a6, v171
	v_fma_f16 v190, v99, 0xb08e, -v172
	v_fmamk_f16 v191, v32, 0xb08e, v173
	v_add_f16_e32 v138, v164, v138
	v_add_f16_e32 v117, v117, v139
	;; [unrolled: 1-line block ×6, first 2 shown]
	v_fma_f16 v162, v99, 0xbbad, -v133
	v_fmamk_f16 v163, v32, 0xbbad, v134
	v_add_f16_e32 v143, v165, v143
	v_add_f16_e32 v165, v169, v21
	;; [unrolled: 1-line block ×16, first 2 shown]
	v_fmac_f16_e32 v147, 0xbbad, v107
	v_add_f16_e32 v109, v162, v111
	v_add_f16_e32 v111, v163, v114
	v_pack_b32_f16 v114, v116, v118
	v_pack_b32_f16 v115, v115, v119
	v_add_f16_e32 v101, v110, v101
	v_add_f16_e32 v98, v103, v98
	v_pack_b32_f16 v108, v120, v121
	v_pack_b32_f16 v112, v127, v128
	v_fmac_f16_e32 v145, 0xb93d, v107
	v_fma_f16 v146, v106, 0xb93d, -v146
	ds_write2_b32 v87, v114, v115 offset0:12 offset1:18
	ds_write2_b32 v87, v108, v112 offset0:24 offset1:30
	v_pack_b32_f16 v161, v101, v98
	v_fma_f16 v98, v106, 0xbbad, -v148
	v_add_f16_e32 v108, v147, v137
	v_fmac_f16_e32 v151, 0x36a6, v105
	v_pack_b32_f16 v160, v109, v111
	v_add_f16_e32 v101, v145, v136
	v_add_f16_e32 v103, v146, v141
	v_fmac_f16_e32 v149, 0xbbad, v105
	v_add_f16_e32 v98, v98, v142
	v_fma_f16 v109, v104, 0xbbad, -v150
	v_fma_f16 v110, v104, 0x36a6, -v152
	v_add_f16_e32 v108, v151, v108
	v_fmac_f16_e32 v155, 0x3abb, v102
	v_add_f16_e32 v101, v149, v101
	v_fmac_f16_e32 v153, 0xb08e, v102
	v_add_f16_e32 v103, v109, v103
	v_add_f16_e32 v98, v110, v98
	v_fma_f16 v109, v100, 0xb08e, -v154
	v_fma_f16 v110, v100, 0x3abb, -v156
	v_add_f16_e32 v108, v155, v108
	v_fmac_f16_e32 v158, 0xb93d, v99
	v_fmac_f16_e32 v123, 0x36a6, v107
	v_add_f16_e32 v101, v153, v101
	v_fmac_f16_e32 v157, 0x3abb, v99
	v_add_f16_e32 v103, v109, v103
	v_add_f16_e32 v98, v110, v98
	;; [unrolled: 1-line block ×3, first 2 shown]
	v_fma_f16 v108, v32, 0xb93d, -v159
	v_fma_f16 v106, v106, 0x36a6, -v124
	;; [unrolled: 1-line block ×3, first 2 shown]
	v_add_f16_e32 v110, v123, v135
	v_fmac_f16_e32 v125, 0xb08e, v105
	v_add_f16_e32 v101, v157, v101
	v_add_f16_e32 v98, v108, v98
	;; [unrolled: 1-line block ×3, first 2 shown]
	v_fma_f16 v104, v104, 0xb08e, -v126
	v_add_f16_e32 v103, v109, v103
	v_add_f16_e32 v106, v125, v110
	v_fmac_f16_e32 v129, 0xb93d, v102
	v_fmac_f16_e32 v166, 0xbbad, v102
	v_fma_f16 v167, v100, 0xbbad, -v167
	v_fmac_f16_e32 v168, 0x36a6, v102
	v_pack_b32_f16 v145, v107, v98
	v_add_f16_e32 v102, v104, v105
	v_fma_f16 v100, v100, 0xb93d, -v130
	v_pack_b32_f16 v146, v101, v103
	v_add_f16_e32 v101, v129, v106
	v_fmac_f16_e32 v133, 0xbbad, v99
	v_mul_f16_e32 v98, 0xb853, v97
	v_sub_f16_e32 v123, v88, v26
	v_fmac_f16_e32 v170, 0x36a6, v99
	v_fmac_f16_e32 v172, 0xb08e, v99
	v_fma_f16 v173, v32, 0xb08e, -v173
	v_fma_f16 v171, v32, 0x36a6, -v171
	v_add_f16_e32 v117, v168, v117
	v_add_f16_e32 v102, v100, v102
	v_fma_f16 v32, v32, 0xbbad, -v134
	v_add_f16_e32 v105, v133, v101
	v_fmamk_f16 v101, v92, 0x3abb, v98
	v_mul_f16_e32 v99, 0xbb47, v96
	v_add_f16_e32 v135, v59, v47
	v_mul_f16_e32 v100, 0xb853, v123
	v_sub_f16_e32 v124, v63, v24
	v_add_f16_e32 v138, v166, v138
	v_add_f16_e32 v143, v167, v143
	;; [unrolled: 1-line block ×6, first 2 shown]
	v_fmamk_f16 v103, v91, 0x36a6, v99
	v_fma_f16 v104, v135, 0x3abb, -v100
	v_add_f16_e32 v136, v58, v48
	v_mul_f16_e32 v101, 0xbb47, v124
	v_mul_f16_e32 v116, 0xbbeb, v123
	;; [unrolled: 1-line block ×3, first 2 shown]
	v_add_f16_e32 v131, v170, v138
	v_add_f16_e32 v138, v171, v143
	v_pack_b32_f16 v143, v117, v132
	v_mul_f16_e32 v111, 0xbb47, v123
	v_add_f16_e32 v106, v103, v102
	v_add_f16_e32 v102, v44, v104
	v_fma_f16 v104, v136, 0x36a6, -v101
	v_fma_f16 v107, v135, 0xb08e, -v116
	v_mul_f16_e32 v117, 0x3482, v124
	v_fmamk_f16 v109, v92, 0xb93d, v121
	v_mul_f16_e32 v119, 0x3beb, v96
	v_mul_f16_e32 v126, 0xba0c, v123
	v_pack_b32_f16 v144, v131, v138
	v_fma_f16 v103, v135, 0x36a6, -v111
	v_mul_f16_e32 v113, 0xba0c, v124
	v_add_f16_e32 v107, v44, v107
	v_fma_f16 v110, v136, 0xbbad, -v117
	v_add_f16_e32 v109, v23, v109
	v_fmamk_f16 v112, v91, 0xb08e, v119
	v_add_f16_e32 v104, v104, v102
	v_fma_f16 v102, v135, 0xb93d, -v126
	v_sub_f16_e32 v131, v62, v25
	v_mul_f16_e32 v127, 0x3beb, v124
	v_add_f16_e32 v103, v44, v103
	v_fma_f16 v108, v136, 0xb93d, -v113
	v_add_f16_e32 v107, v110, v107
	v_add_f16_e32 v109, v112, v109
	;; [unrolled: 1-line block ×4, first 2 shown]
	v_fma_f16 v112, v136, 0xb08e, -v127
	v_mul_f16_e32 v115, 0x3482, v131
	v_mul_f16_e32 v122, 0x3b47, v131
	v_add_f16_e32 v108, v108, v103
	v_mul_f16_e32 v102, 0xbbeb, v95
	v_mul_f16_e32 v103, 0xbbeb, v131
	v_add_f16_e32 v112, v112, v110
	v_fma_f16 v110, v140, 0xbbad, -v115
	v_fma_f16 v120, v140, 0x36a6, -v122
	v_sub_f16_e32 v137, v61, v31
	v_mul_f16_e32 v132, 0xb853, v131
	v_fmamk_f16 v114, v90, 0xb08e, v102
	v_fma_f16 v118, v140, 0xb08e, -v103
	v_mul_f16_e32 v125, 0xb853, v95
	v_add_f16_e32 v108, v110, v108
	v_add_f16_e32 v107, v120, v107
	;; [unrolled: 1-line block ×3, first 2 shown]
	v_mul_f16_e32 v110, 0xba0c, v137
	v_fma_f16 v128, v140, 0x3abb, -v132
	v_mul_f16_e32 v120, 0x3beb, v137
	v_add_f16_e32 v106, v114, v106
	v_add_f16_e32 v114, v118, v104
	v_fmamk_f16 v118, v90, 0x3abb, v125
	v_mul_f16_e32 v104, 0xba0c, v94
	v_fma_f16 v129, v141, 0xb93d, -v110
	v_add_f16_e32 v130, v128, v112
	v_mul_f16_e32 v128, 0xb853, v137
	v_fma_f16 v112, v141, 0xb08e, -v120
	v_add_f16_e32 v109, v118, v109
	v_fmamk_f16 v118, v89, 0xb93d, v104
	v_add_f16_e32 v147, v129, v114
	v_mul_f16_e32 v129, 0xb482, v94
	v_fma_f16 v114, v141, 0x3abb, -v128
	v_add_f16_e32 v148, v112, v108
	v_mul_f16_e32 v134, 0xb482, v137
	v_mul_f16_e32 v112, 0xb482, v93
	v_sub_f16_e32 v139, v60, v35
	v_add_f16_e32 v106, v118, v106
	v_fmamk_f16 v108, v89, 0xbbad, v129
	v_add_f16_e32 v107, v114, v107
	v_fma_f16 v118, v141, 0xbbad, -v134
	v_fmamk_f16 v133, v41, 0xbbad, v112
	v_add_f16_e32 v142, v53, v51
	v_mul_f16_e32 v114, 0xb482, v139
	v_add_f16_e32 v149, v108, v109
	v_add_f16_e32 v150, v118, v130
	;; [unrolled: 1-line block ×3, first 2 shown]
	v_mul_f16_e32 v118, 0x3853, v139
	v_mul_f16_e32 v130, 0xba0c, v139
	v_fma_f16 v108, v142, 0xbbad, -v114
	v_mul_f16_e32 v138, 0x3b47, v139
	v_mul_f16_e32 v133, 0x3b47, v93
	v_fma_f16 v109, v142, 0x3abb, -v118
	v_fma_f16 v151, v142, 0xb93d, -v130
	v_add_f16_e32 v108, v108, v147
	v_fma_f16 v147, v142, 0x36a6, -v138
	v_fmamk_f16 v152, v41, 0x36a6, v133
	v_add_f16_e32 v109, v109, v148
	v_add_f16_e32 v107, v151, v107
	v_pack_b32_f16 v148, v105, v32
	v_add_f16_e32 v105, v147, v150
	v_add_f16_e32 v32, v152, v149
	ds_write2_b32 v87, v143, v144 offset0:36 offset1:42
	ds_write2_b32 v87, v161, v160 offset1:6
	ds_write2_b32 v87, v145, v146 offset0:48 offset1:54
	ds_write_b32 v87, v148 offset:240
	s_and_saveexec_b32 s6, vcc_lo
	s_cbranch_execz .LBB0_5
; %bb.4:
	v_mul_f16_e32 v144, 0x3abb, v135
	v_mul_f16_e32 v146, 0x36a6, v135
	;; [unrolled: 1-line block ×9, first 2 shown]
	v_fmamk_f16 v176, v123, 0x3482, v135
	v_mul_f16_e32 v136, 0x3abb, v136
	v_mul_f16_e32 v160, 0xb08e, v140
	;; [unrolled: 1-line block ×5, first 2 shown]
	v_add_f16_e32 v176, v44, v176
	v_fmamk_f16 v180, v124, 0xb853, v136
	v_mul_f16_e32 v140, 0xb93d, v140
	v_mul_f16_e32 v97, 0xb482, v97
	;; [unrolled: 1-line block ×6, first 2 shown]
	v_add_f16_e32 v176, v180, v176
	v_fmamk_f16 v180, v131, 0x3a0c, v140
	v_mul_f16_e32 v141, 0x36a6, v141
	v_fmamk_f16 v184, v92, 0xbbad, v97
	v_mul_f16_e32 v96, 0x3853, v96
	v_mul_f16_e32 v95, 0xba0c, v95
	v_add_f16_e32 v176, v180, v176
	v_fmamk_f16 v180, v137, 0xbb47, v141
	v_add_f16_e32 v184, v23, v184
	v_fmamk_f16 v186, v91, 0x3abb, v96
	v_fmac_f16_e32 v135, 0xb482, v123
	v_mul_f16_e32 v143, 0x3abb, v92
	v_mul_f16_e32 v145, 0x36a6, v92
	;; [unrolled: 1-line block ×4, first 2 shown]
	v_add_f16_e32 v176, v180, v176
	v_add_f16_e32 v123, v186, v184
	v_fmamk_f16 v180, v90, 0xb93d, v95
	v_mul_f16_e32 v94, 0x3b47, v94
	v_add_f16_e32 v135, v44, v135
	v_fmac_f16_e32 v136, 0x3853, v124
	v_fma_f16 v92, v92, 0xbbad, -v97
	v_mul_f16_e32 v151, 0x36a6, v91
	v_mul_f16_e32 v153, 0xb93d, v91
	;; [unrolled: 1-line block ×4, first 2 shown]
	v_add_f16_e32 v123, v180, v123
	v_fmamk_f16 v124, v89, 0x36a6, v94
	v_add_f16_e32 v97, v136, v135
	v_fmac_f16_e32 v140, 0xba0c, v131
	v_add_f16_e32 v92, v23, v92
	v_fma_f16 v91, v91, 0x3abb, -v96
	v_mul_f16_e32 v159, 0xb08e, v90
	v_mul_f16_e32 v161, 0xbbad, v90
	;; [unrolled: 1-line block ×4, first 2 shown]
	v_add_f16_e32 v123, v124, v123
	v_add_f16_e32 v96, v140, v97
	v_fmac_f16_e32 v141, 0x3b47, v137
	v_add_f16_e32 v124, v126, v150
	v_add_f16_e32 v91, v91, v92
	v_fma_f16 v90, v90, 0xb93d, -v95
	v_mul_f16_e32 v167, 0xb93d, v89
	v_mul_f16_e32 v169, 0xb08e, v89
	;; [unrolled: 1-line block ×4, first 2 shown]
	v_add_f16_e32 v92, v141, v96
	v_add_f16_e32 v95, v44, v124
	;; [unrolled: 1-line block ×4, first 2 shown]
	v_fma_f16 v89, v89, 0x36a6, -v94
	v_mul_f16_e32 v185, 0x36a6, v142
	v_sub_f16_e32 v40, v147, v40
	v_add_f16_e32 v94, v96, v95
	v_add_f16_e32 v95, v132, v166
	v_add_f16_e32 v89, v89, v90
	v_sub_f16_e32 v90, v149, v121
	v_sub_f16_e32 v96, v157, v119
	v_add_f16_e32 v40, v23, v40
	v_add_f16_e32 v94, v95, v94
	;; [unrolled: 1-line block ×4, first 2 shown]
	v_sub_f16_e32 v39, v155, v39
	v_sub_f16_e32 v38, v163, v38
	;; [unrolled: 1-line block ×3, first 2 shown]
	v_add_f16_e32 v94, v95, v94
	v_add_f16_e32 v95, v138, v185
	;; [unrolled: 1-line block ×3, first 2 shown]
	v_sub_f16_e32 v96, v165, v125
	v_add_f16_e32 v39, v39, v40
	v_sub_f16_e32 v37, v171, v37
	v_add_f16_e32 v94, v95, v94
	;; [unrolled: 2-line block ×3, first 2 shown]
	v_add_f16_e32 v38, v38, v39
	v_add_f16_e32 v36, v23, v36
	v_sub_f16_e32 v33, v153, v33
	v_sub_f16_e32 v30, v161, v30
	v_add_f16_e32 v90, v95, v90
	v_add_f16_e32 v95, v111, v146
	;; [unrolled: 1-line block ×5, first 2 shown]
	v_mul_f16_e32 v93, 0xbbeb, v93
	v_add_f16_e32 v40, v44, v95
	v_add_f16_e32 v95, v113, v154
	;; [unrolled: 1-line block ×4, first 2 shown]
	v_sub_f16_e32 v28, v169, v28
	v_mul_f16_e32 v175, 0xbbad, v41
	v_add_f16_e32 v39, v95, v40
	v_add_f16_e32 v40, v115, v162
	;; [unrolled: 1-line block ×3, first 2 shown]
	v_mul_f16_e32 v178, 0x3abb, v41
	v_mul_f16_e32 v181, 0xb93d, v41
	;; [unrolled: 1-line block ×3, first 2 shown]
	v_add_f16_e32 v38, v40, v39
	v_add_f16_e32 v40, v44, v59
	v_fmamk_f16 v97, v41, 0xb08e, v93
	v_fma_f16 v41, v41, 0xb08e, -v93
	v_add_f16_e32 v93, v116, v148
	v_add_f16_e32 v28, v28, v30
	;; [unrolled: 1-line block ×4, first 2 shown]
	v_sub_f16_e32 v30, v143, v98
	v_add_f16_e32 v36, v36, v61
	v_add_f16_e32 v93, v44, v93
	;; [unrolled: 1-line block ×8, first 2 shown]
	v_sub_f16_e32 v36, v151, v99
	v_add_f16_e32 v40, v44, v40
	v_add_f16_e32 v44, v103, v160
	v_add_f16_e32 v30, v30, v35
	v_add_f16_e32 v33, v33, v53
	v_add_f16_e32 v91, v97, v123
	v_add_f16_e32 v97, v117, v156
	v_add_f16_e32 v23, v36, v23
	v_sub_f16_e32 v35, v159, v102
	v_add_f16_e32 v33, v33, v51
	v_add_f16_e32 v36, v44, v40
	;; [unrolled: 1-line block ×4, first 2 shown]
	v_mul_f16_e32 v177, 0xbbad, v142
	v_add_f16_e32 v33, v33, v50
	v_add_f16_e32 v93, v97, v93
	;; [unrolled: 1-line block ×4, first 2 shown]
	v_sub_f16_e32 v35, v167, v104
	v_add_f16_e32 v25, v30, v25
	v_add_f16_e32 v30, v31, v36
	;; [unrolled: 1-line block ×3, first 2 shown]
	v_mul_f16_e32 v179, 0x3abb, v142
	v_mul_f16_e32 v182, 0xb93d, v142
	v_add_f16_e32 v93, v97, v93
	v_add_f16_e32 v96, v128, v172
	;; [unrolled: 1-line block ×6, first 2 shown]
	v_mul_u32_u24_sdwa v25, v85, v34 dst_sel:DWORD dst_unused:UNUSED_PAD src0_sel:WORD_0 src1_sel:DWORD
	v_add_f16_e32 v31, v31, v48
	v_sub_f16_e32 v34, v175, v112
	v_mul_f16_e32 v142, 0xb08e, v142
	v_add_f16_e32 v93, v96, v93
	v_add_f16_e32 v96, v130, v182
	v_sub_f16_e32 v29, v181, v29
	v_add_f16_e32 v38, v39, v38
	v_add_f16_e32 v39, v118, v179
	;; [unrolled: 1-line block ×4, first 2 shown]
	v_add_nc_u32_sdwa v25, v25, v86 dst_sel:DWORD dst_unused:UNUSED_PAD src0_sel:DWORD src1_sel:BYTE_0
	v_add_f16_e32 v26, v31, v47
	v_add_f16_e32 v23, v34, v23
	v_sub_f16_e32 v27, v178, v27
	v_fmamk_f16 v184, v139, 0x3beb, v142
	v_fmac_f16_e32 v142, 0xbbeb, v139
	v_sub_f16_e32 v97, v183, v133
	v_add_f16_e32 v93, v96, v93
	v_add_f16_e32 v31, v39, v38
	v_lshl_add_u32 v25, v25, 2, v84
	v_pack_b32_f16 v24, v24, v26
	v_pack_b32_f16 v23, v23, v30
	v_add_f16_e32 v26, v27, v28
	v_add_f16_e32 v27, v29, v37
	;; [unrolled: 1-line block ×6, first 2 shown]
	ds_write2_b32 v25, v24, v23 offset1:6
	v_pack_b32_f16 v23, v26, v31
	v_pack_b32_f16 v24, v27, v93
	;; [unrolled: 1-line block ×5, first 2 shown]
	v_perm_b32 v29, v105, v32, 0x5040100
	v_perm_b32 v30, v107, v21, 0x5040100
	;; [unrolled: 1-line block ×4, first 2 shown]
	ds_write2_b32 v25, v23, v24 offset0:12 offset1:18
	ds_write2_b32 v25, v26, v27 offset0:24 offset1:30
	;; [unrolled: 1-line block ×4, first 2 shown]
	ds_write_b32 v25, v33 offset:240
.LBB0_5:
	s_or_b32 exec_lo, exec_lo, s6
	v_and_b32_e32 v23, 0xff, v42
	v_add_co_u32 v33, null, 0xc6, v80
	v_mov_b32_e32 v24, 0xf83f
	v_add_co_u32 v37, null, 0x108, v80
	v_mul_lo_u16 v23, 0xf9, v23
	v_add_co_u32 v34, null, 0x14a, v80
	v_mul_u32_u24_sdwa v26, v33, v24 dst_sel:DWORD dst_unused:UNUSED_PAD src0_sel:WORD_0 src1_sel:DWORD
	v_mov_b32_e32 v28, 2
	v_lshrrev_b16 v23, 14, v23
	v_mul_u32_u24_sdwa v35, v37, v24 dst_sel:DWORD dst_unused:UNUSED_PAD src0_sel:WORD_0 src1_sel:DWORD
	v_add_nc_u32_e32 v25, 0x18c, v80
	v_lshrrev_b32_e32 v26, 22, v26
	v_lshlrev_b32_e32 v48, 2, v80
	v_mul_lo_u16 v23, 0x42, v23
	v_mul_u32_u24_sdwa v36, v34, v24 dst_sel:DWORD dst_unused:UNUSED_PAD src0_sel:WORD_0 src1_sel:DWORD
	v_add_nc_u32_e32 v27, 0x1ce, v80
	v_mul_lo_u16 v26, 0x42, v26
	v_add_nc_u32_e32 v29, 0x210, v80
	v_sub_nc_u16 v23, v42, v23
	s_waitcnt lgkmcnt(0)
	s_barrier
	v_sub_nc_u16 v26, v33, v26
	buffer_gl0_inv
	v_lshlrev_b32_sdwa v41, v28, v23 dst_sel:DWORD dst_unused:UNUSED_PAD src0_sel:DWORD src1_sel:BYTE_0
	v_lshrrev_b32_e32 v23, 22, v35
	global_load_dword v88, v48, s[2:3] offset:240
	v_lshlrev_b32_sdwa v51, v28, v26 dst_sel:DWORD dst_unused:UNUSED_PAD src0_sel:DWORD src1_sel:WORD_0
	v_lshrrev_b32_e32 v26, 22, v36
	v_mul_u32_u24_sdwa v30, v25, v24 dst_sel:DWORD dst_unused:UNUSED_PAD src0_sel:WORD_0 src1_sel:DWORD
	v_mul_u32_u24_sdwa v31, v27, v24 dst_sel:DWORD dst_unused:UNUSED_PAD src0_sel:WORD_0 src1_sel:DWORD
	v_mul_lo_u16 v23, 0x42, v23
	global_load_dword v93, v51, s[2:3] offset:240
	v_mul_u32_u24_sdwa v24, v29, v24 dst_sel:DWORD dst_unused:UNUSED_PAD src0_sel:WORD_0 src1_sel:DWORD
	v_mul_lo_u16 v26, 0x42, v26
	v_lshrrev_b32_e32 v30, 22, v30
	v_lshrrev_b32_e32 v31, 22, v31
	v_sub_nc_u16 v23, v37, v23
	v_lshrrev_b32_e32 v24, 22, v24
	v_sub_nc_u16 v26, v34, v26
	v_mul_lo_u16 v30, 0x42, v30
	v_mul_lo_u16 v31, 0x42, v31
	v_lshlrev_b32_sdwa v61, v28, v23 dst_sel:DWORD dst_unused:UNUSED_PAD src0_sel:DWORD src1_sel:WORD_0
	v_mul_lo_u16 v23, 0x42, v24
	v_lshlrev_b32_sdwa v62, v28, v26 dst_sel:DWORD dst_unused:UNUSED_PAD src0_sel:DWORD src1_sel:WORD_0
	v_sub_nc_u16 v24, v25, v30
	v_sub_nc_u16 v25, v27, v31
	global_load_dword v94, v61, s[2:3] offset:240
	v_sub_nc_u16 v23, v29, v23
	s_clause 0x1
	global_load_dword v92, v62, s[2:3] offset:240
	global_load_dword v95, v41, s[2:3] offset:240
	v_lshlrev_b32_sdwa v63, v28, v24 dst_sel:DWORD dst_unused:UNUSED_PAD src0_sel:DWORD src1_sel:WORD_0
	v_lshlrev_b32_sdwa v96, v28, v25 dst_sel:DWORD dst_unused:UNUSED_PAD src0_sel:DWORD src1_sel:WORD_0
	;; [unrolled: 1-line block ×3, first 2 shown]
	s_clause 0x2
	global_load_dword v91, v63, s[2:3] offset:240
	global_load_dword v90, v96, s[2:3] offset:240
	;; [unrolled: 1-line block ×3, first 2 shown]
	v_add_nc_u32_e32 v58, 0x800, v83
	ds_read2_b32 v[23:24], v83 offset1:66
	ds_read2_b32 v[25:26], v83 offset0:132 offset1:198
	ds_read2_b32 v[27:28], v58 offset0:16 offset1:82
	;; [unrolled: 1-line block ×3, first 2 shown]
	v_lshrrev_b32_e32 v98, 23, v35
	v_add_nc_u32_e32 v57, 0xc00, v83
	v_add_nc_u32_e32 v31, 0x400, v83
	;; [unrolled: 1-line block ×3, first 2 shown]
	ds_read2_b32 v[39:40], v57 offset0:24 offset1:90
	ds_read2_b32 v[49:50], v31 offset0:8 offset1:74
	;; [unrolled: 1-line block ×4, first 2 shown]
	v_mul_lo_u16 v98, 0x84, v98
	v_lshlrev_b32_e32 v38, 3, v43
	ds_read2_b32 v[43:44], v47 offset0:32 offset1:98
	v_add_nc_u32_e32 v101, v84, v62
	v_add_nc_u32_e32 v100, v84, v63
	v_sub_nc_u16 v114, v37, v98
	v_add_nc_u32_e32 v99, v84, v96
	v_add_nc_u32_e32 v98, v84, v97
	s_waitcnt lgkmcnt(8)
	v_lshrrev_b32_e32 v110, 16, v23
	v_lshrrev_b32_e32 v111, 16, v24
	s_waitcnt lgkmcnt(7)
	v_lshrrev_b32_e32 v112, 16, v25
	s_waitcnt lgkmcnt(6)
	;; [unrolled: 2-line block ×3, first 2 shown]
	v_lshrrev_b32_e32 v116, 16, v29
	v_lshrrev_b32_e32 v117, 16, v30
	s_waitcnt vmcnt(0) lgkmcnt(0)
	s_barrier
	v_lshrrev_b32_e32 v118, 16, v39
	v_lshrrev_b32_e32 v120, 16, v40
	;; [unrolled: 1-line block ×4, first 2 shown]
	buffer_gl0_inv
	v_lshrrev_b32_e32 v113, 16, v26
	v_lshrrev_b32_e32 v126, 16, v43
	;; [unrolled: 1-line block ×9, first 2 shown]
	v_add_nc_u32_e32 v104, v84, v41
	v_add_nc_u32_e32 v103, v84, v51
	v_mul_lo_u16 v36, 0x84, v36
	v_add_nc_u32_e32 v102, v84, v61
	v_lshlrev_b16 v129, 3, v114
	v_add_nc_u32_e32 v41, 0x400, v104
	v_add_nc_u32_e32 v51, 0x400, v103
	v_sub_nc_u16 v36, v34, v36
	v_add_nc_u32_e32 v61, 0x800, v102
	v_add_nc_u32_e32 v130, 0x800, v101
	v_lshlrev_b32_e32 v35, 3, v80
	v_lshlrev_b32_e32 v33, 3, v33
	;; [unrolled: 1-line block ×3, first 2 shown]
	v_mul_f16_sdwa v62, v115, v88 dst_sel:DWORD dst_unused:UNUSED_PAD src0_sel:DWORD src1_sel:WORD_1
	v_mul_f16_sdwa v63, v28, v88 dst_sel:DWORD dst_unused:UNUSED_PAD src0_sel:DWORD src1_sel:WORD_1
	;; [unrolled: 1-line block ×4, first 2 shown]
	v_fma_f16 v28, v28, v88, -v62
	v_fmac_f16_e32 v63, v115, v88
	v_fma_f16 v29, v29, v88, -v96
	v_fmac_f16_e32 v97, v116, v88
	v_add_nc_u32_e32 v62, 0xc00, v100
	v_sub_f16_e32 v28, v23, v28
	v_sub_f16_e32 v63, v110, v63
	;; [unrolled: 1-line block ×4, first 2 shown]
	v_add_nc_u32_e32 v97, 0xc00, v99
	v_fma_f16 v23, v23, 2.0, -v28
	v_fma_f16 v110, v110, 2.0, -v63
	;; [unrolled: 1-line block ×4, first 2 shown]
	v_pack_b32_f16 v28, v28, v63
	v_pack_b32_f16 v29, v29, v96
	;; [unrolled: 1-line block ×3, first 2 shown]
	v_mul_f16_sdwa v110, v118, v93 dst_sel:DWORD dst_unused:UNUSED_PAD src0_sel:DWORD src1_sel:WORD_1
	v_pack_b32_f16 v24, v24, v111
	v_mul_f16_sdwa v63, v117, v95 dst_sel:DWORD dst_unused:UNUSED_PAD src0_sel:DWORD src1_sel:WORD_1
	v_mul_f16_sdwa v96, v30, v95 dst_sel:DWORD dst_unused:UNUSED_PAD src0_sel:DWORD src1_sel:WORD_1
	;; [unrolled: 1-line block ×13, first 2 shown]
	ds_write2_b32 v83, v23, v28 offset1:66
	ds_write2_b32 v83, v24, v29 offset0:132 offset1:198
	v_fma_f16 v23, v30, v95, -v63
	v_fmac_f16_e32 v96, v117, v95
	v_fma_f16 v24, v39, v93, -v110
	v_fmac_f16_e32 v111, v118, v93
	;; [unrolled: 2-line block ×7, first 2 shown]
	v_sub_f16_e32 v23, v25, v23
	v_sub_f16_e32 v43, v112, v96
	;; [unrolled: 1-line block ×14, first 2 shown]
	v_fma_f16 v25, v25, 2.0, -v23
	v_fma_f16 v111, v112, 2.0, -v43
	;; [unrolled: 1-line block ×14, first 2 shown]
	v_pack_b32_f16 v23, v23, v43
	v_pack_b32_f16 v25, v25, v111
	;; [unrolled: 1-line block ×10, first 2 shown]
	v_add_nc_u32_e32 v115, 0x1000, v98
	v_pack_b32_f16 v39, v39, v96
	v_pack_b32_f16 v40, v40, v110
	;; [unrolled: 1-line block ×4, first 2 shown]
	ds_write2_b32 v41, v25, v23 offset0:8 offset1:74
	ds_write2_b32 v51, v26, v24 offset0:140 offset1:206
	ds_write2_b32 v61, v43, v28 offset0:16 offset1:82
	ds_write2_b32 v130, v44, v29 offset0:148 offset1:214
	ds_write2_b32 v62, v49, v30 offset0:24 offset1:90
	ds_write2_b32 v97, v50, v39 offset0:156 offset1:222
	ds_write2_b32 v115, v27, v40 offset0:32 offset1:98
	v_lshlrev_b16 v23, 3, v36
	v_and_b32_e32 v24, 0xffff, v129
	s_waitcnt lgkmcnt(0)
	s_barrier
	buffer_gl0_inv
	v_and_b32_e32 v25, 0xffff, v23
	v_add_co_u32 v23, s6, s2, v24
	v_add_co_ci_u32_e64 v24, null, s3, 0, s6
	v_add_co_u32 v39, s6, s2, v25
	s_clause 0x1
	global_load_dwordx2 v[29:30], v35, s[2:3] offset:504
	global_load_dwordx2 v[27:28], v38, s[2:3] offset:504
	v_add_co_ci_u32_e64 v40, null, s3, 0, s6
	s_clause 0x1
	global_load_dwordx2 v[25:26], v[23:24], off offset:504
	global_load_dwordx2 v[23:24], v[39:40], off offset:504
	ds_read2_b32 v[39:40], v83 offset1:66
	ds_read2_b32 v[43:44], v31 offset0:140 offset1:206
	ds_read2_b32 v[49:50], v57 offset0:24 offset1:90
	;; [unrolled: 1-line block ×5, first 2 shown]
	v_and_b32_e32 v41, 0xffff, v114
	ds_read2_b32 v[110:111], v31 offset0:8 offset1:74
	ds_read2_b32 v[112:113], v58 offset0:148 offset1:214
	;; [unrolled: 1-line block ×3, first 2 shown]
	v_and_b32_e32 v36, 0xffff, v36
	s_waitcnt vmcnt(0) lgkmcnt(0)
	s_barrier
	v_lshl_add_u32 v97, v41, 2, v84
	buffer_gl0_inv
	v_lshl_add_u32 v96, v36, 2, v84
	v_add_nc_u32_e32 v36, 0xc00, v97
	v_add_nc_u32_e32 v41, 0xc00, v96
	v_lshrrev_b32_e32 v51, 16, v39
	v_lshrrev_b32_e32 v63, 16, v43
	;; [unrolled: 1-line block ×18, first 2 shown]
	v_mul_f16_sdwa v132, v63, v29 dst_sel:DWORD dst_unused:UNUSED_PAD src0_sel:DWORD src1_sel:WORD_1
	v_mul_f16_sdwa v133, v43, v29 dst_sel:DWORD dst_unused:UNUSED_PAD src0_sel:DWORD src1_sel:WORD_1
	;; [unrolled: 1-line block ×24, first 2 shown]
	v_fma_f16 v43, v43, v29, -v132
	v_fmac_f16_e32 v133, v63, v29
	v_fma_f16 v49, v49, v30, -v134
	v_fmac_f16_e32 v135, v116, v30
	;; [unrolled: 2-line block ×12, first 2 shown]
	v_add_f16_e32 v116, v43, v49
	v_add_f16_e32 v121, v133, v135
	;; [unrolled: 1-line block ×5, first 2 shown]
	v_sub_f16_e32 v118, v133, v135
	v_add_f16_e32 v119, v51, v133
	v_add_f16_e32 v122, v40, v44
	v_sub_f16_e32 v125, v137, v139
	v_add_f16_e32 v127, v117, v137
	v_add_f16_e32 v131, v59, v61
	v_sub_f16_e32 v132, v141, v143
	v_add_f16_e32 v133, v120, v141
	v_add_f16_e32 v134, v141, v143
	v_add_f16_e32 v137, v60, v62
	v_add_f16_e32 v141, v145, v147
	;; [unrolled: 1-line block ×4, first 2 shown]
	v_sub_f16_e32 v43, v43, v49
	v_sub_f16_e32 v44, v44, v50
	v_add_f16_e32 v130, v53, v59
	v_add_f16_e32 v136, v54, v60
	v_sub_f16_e32 v138, v145, v147
	v_add_f16_e32 v140, v123, v145
	v_sub_f16_e32 v145, v149, v151
	v_add_f16_e32 v146, v126, v149
	v_add_f16_e32 v149, v111, v113
	v_add_f16_e32 v150, v113, v114
	v_sub_f16_e32 v152, v153, v155
	v_add_f16_e32 v154, v129, v153
	v_add_f16_e32 v153, v153, v155
	v_fma_f16 v39, -0.5, v116, v39
	v_fmac_f16_e32 v51, -0.5, v121
	v_fmac_f16_e32 v40, -0.5, v124
	;; [unrolled: 1-line block ×3, first 2 shown]
	v_sub_f16_e32 v59, v59, v61
	v_sub_f16_e32 v60, v60, v62
	v_add_f16_e32 v49, v115, v49
	v_add_f16_e32 v115, v119, v135
	;; [unrolled: 1-line block ×4, first 2 shown]
	v_fma_f16 v53, -0.5, v131, v53
	v_fmac_f16_e32 v120, -0.5, v134
	v_fmac_f16_e32 v54, -0.5, v137
	;; [unrolled: 1-line block ×3, first 2 shown]
	v_add_f16_e32 v142, v110, v63
	v_sub_f16_e32 v63, v63, v112
	v_fma_f16 v110, -0.5, v144, v110
	v_fmac_f16_e32 v126, -0.5, v148
	v_sub_f16_e32 v113, v113, v114
	v_add_f16_e32 v61, v130, v61
	v_add_f16_e32 v119, v133, v143
	;; [unrolled: 1-line block ×5, first 2 shown]
	v_fmac_f16_e32 v111, -0.5, v150
	v_add_f16_e32 v124, v154, v155
	v_fmac_f16_e32 v129, -0.5, v153
	v_fmamk_f16 v127, v118, 0x3aee, v39
	v_fmac_f16_e32 v39, 0xbaee, v118
	v_fmamk_f16 v118, v43, 0xbaee, v51
	v_fmac_f16_e32 v51, 0x3aee, v43
	;; [unrolled: 2-line block ×4, first 2 shown]
	v_fmamk_f16 v44, v132, 0x3aee, v53
	v_fmamk_f16 v128, v59, 0xbaee, v120
	v_fmac_f16_e32 v120, 0x3aee, v59
	v_fmamk_f16 v59, v138, 0x3aee, v54
	v_fmamk_f16 v130, v60, 0xbaee, v123
	v_pack_b32_f16 v49, v49, v115
	v_pack_b32_f16 v50, v50, v116
	v_fmac_f16_e32 v53, 0xbaee, v132
	v_fmac_f16_e32 v54, 0xbaee, v138
	;; [unrolled: 1-line block ×3, first 2 shown]
	v_add_f16_e32 v112, v142, v112
	v_add_f16_e32 v122, v146, v151
	v_fmamk_f16 v60, v145, 0x3aee, v110
	v_fmamk_f16 v131, v63, 0xbaee, v126
	v_fmac_f16_e32 v110, 0xbaee, v145
	v_fmac_f16_e32 v126, 0x3aee, v63
	v_fmamk_f16 v63, v152, 0x3aee, v111
	v_fmac_f16_e32 v111, 0xbaee, v152
	v_fmamk_f16 v132, v113, 0xbaee, v129
	v_fmac_f16_e32 v129, 0x3aee, v113
	v_pack_b32_f16 v61, v61, v119
	v_pack_b32_f16 v62, v62, v121
	;; [unrolled: 1-line block ×7, first 2 shown]
	ds_write2_b32 v83, v49, v50 offset1:66
	v_pack_b32_f16 v44, v44, v128
	v_pack_b32_f16 v50, v59, v130
	v_pack_b32_f16 v49, v53, v120
	v_pack_b32_f16 v51, v54, v123
	v_pack_b32_f16 v112, v112, v122
	v_pack_b32_f16 v53, v60, v131
	ds_write2_b32 v31, v61, v62 offset0:140 offset1:206
	v_pack_b32_f16 v54, v110, v126
	v_pack_b32_f16 v59, v63, v132
	;; [unrolled: 1-line block ×3, first 2 shown]
	ds_write2_b32 v83, v114, v43 offset0:132 offset1:198
	ds_write2_b32 v31, v39, v40 offset0:8 offset1:74
	;; [unrolled: 1-line block ×5, first 2 shown]
	ds_write_b32 v97, v54 offset:4224
	ds_write2_b32 v41, v113, v59 offset0:24 offset1:156
	ds_write_b32 v96, v60 offset:4224
	v_lshlrev_b32_e32 v39, 3, v42
	s_waitcnt lgkmcnt(0)
	s_barrier
	buffer_gl0_inv
	s_clause 0x3
	global_load_dwordx2 v[35:36], v35, s[2:3] offset:1560
	global_load_dwordx2 v[43:44], v38, s[2:3] offset:1560
	;; [unrolled: 1-line block ×4, first 2 shown]
	v_lshlrev_b32_e32 v33, 3, v34
	s_clause 0x1
	global_load_dwordx2 v[37:38], v37, s[2:3] offset:1560
	global_load_dwordx2 v[33:34], v33, s[2:3] offset:1560
	v_lshl_add_u32 v111, v46, 2, v45
	v_add_co_u32 v63, s0, s0, v48
	ds_read2_b32 v[45:46], v83 offset1:66
	ds_read2_b32 v[48:49], v31 offset0:140 offset1:206
	ds_read2_b32 v[50:51], v57 offset0:24 offset1:90
	;; [unrolled: 1-line block ×8, first 2 shown]
	v_add_co_ci_u32_e64 v110, null, s1, 0, s0
	v_add_co_u32 v53, s0, 0x1290, v63
	v_add_nc_u32_e32 v124, 0x800, v111
	v_add_co_ci_u32_e64 v54, s0, 0, v110, s0
	v_add_co_u32 v120, s0, 0x1000, v63
	v_add_co_ci_u32_e64 v121, s0, 0, v110, s0
	v_add_co_u32 v122, s0, 0x1800, v63
	v_add_co_ci_u32_e64 v123, s0, 0, v110, s0
	s_waitcnt lgkmcnt(4)
	v_lshrrev_b32_e32 v134, 16, v61
	s_waitcnt lgkmcnt(3)
	v_lshrrev_b32_e32 v135, 16, v112
	v_lshrrev_b32_e32 v128, 16, v48
	v_lshrrev_b32_e32 v129, 16, v50
	v_lshrrev_b32_e32 v131, 16, v49
	v_lshrrev_b32_e32 v132, 16, v51
	v_lshrrev_b32_e32 v137, 16, v62
	v_lshrrev_b32_e32 v138, 16, v113
	s_waitcnt lgkmcnt(1)
	v_lshrrev_b32_e32 v140, 16, v116
	s_waitcnt lgkmcnt(0)
	v_lshrrev_b32_e32 v141, 16, v118
	v_lshrrev_b32_e32 v143, 16, v117
	;; [unrolled: 1-line block ×9, first 2 shown]
	v_add_nc_u32_e32 v125, 0xc00, v111
	v_add_nc_u32_e32 v126, 0x1000, v111
	s_waitcnt vmcnt(5)
	v_mul_f16_sdwa v145, v128, v35 dst_sel:DWORD dst_unused:UNUSED_PAD src0_sel:DWORD src1_sel:WORD_1
	v_mul_f16_sdwa v146, v48, v35 dst_sel:DWORD dst_unused:UNUSED_PAD src0_sel:DWORD src1_sel:WORD_1
	v_mul_f16_sdwa v147, v129, v36 dst_sel:DWORD dst_unused:UNUSED_PAD src0_sel:DWORD src1_sel:WORD_1
	v_mul_f16_sdwa v148, v50, v36 dst_sel:DWORD dst_unused:UNUSED_PAD src0_sel:DWORD src1_sel:WORD_1
	s_waitcnt vmcnt(4)
	v_mul_f16_sdwa v149, v131, v43 dst_sel:DWORD dst_unused:UNUSED_PAD src0_sel:DWORD src1_sel:WORD_1
	v_mul_f16_sdwa v150, v49, v43 dst_sel:DWORD dst_unused:UNUSED_PAD src0_sel:DWORD src1_sel:WORD_1
	v_mul_f16_sdwa v151, v132, v44 dst_sel:DWORD dst_unused:UNUSED_PAD src0_sel:DWORD src1_sel:WORD_1
	v_mul_f16_sdwa v152, v51, v44 dst_sel:DWORD dst_unused:UNUSED_PAD src0_sel:DWORD src1_sel:WORD_1
	;; [unrolled: 5-line block ×6, first 2 shown]
	v_fma_f16 v48, v48, v35, -v145
	v_fmac_f16_e32 v146, v128, v35
	v_fma_f16 v50, v50, v36, -v147
	v_fmac_f16_e32 v148, v129, v36
	;; [unrolled: 2-line block ×12, first 2 shown]
	v_add_f16_e32 v129, v48, v50
	v_add_f16_e32 v134, v146, v148
	;; [unrolled: 1-line block ×5, first 2 shown]
	v_sub_f16_e32 v131, v146, v148
	v_add_f16_e32 v132, v127, v146
	v_sub_f16_e32 v48, v48, v50
	v_add_f16_e32 v135, v46, v49
	;; [unrolled: 2-line block ×3, first 2 shown]
	v_add_f16_e32 v144, v61, v112
	v_sub_f16_e32 v145, v154, v156
	v_add_f16_e32 v146, v133, v154
	v_add_f16_e32 v147, v154, v156
	v_add_f16_e32 v150, v62, v113
	v_sub_f16_e32 v151, v158, v160
	v_add_f16_e32 v153, v136, v158
	v_add_f16_e32 v154, v158, v160
	v_add_f16_e32 v155, v114, v116
	v_add_f16_e32 v157, v116, v118
	v_sub_f16_e32 v158, v162, v164
	v_add_f16_e32 v159, v139, v162
	;; [unrolled: 5-line block ×3, first 2 shown]
	v_add_f16_e32 v166, v166, v168
	v_fma_f16 v45, -0.5, v129, v45
	v_fmac_f16_e32 v127, -0.5, v134
	v_sub_f16_e32 v49, v49, v51
	v_fmac_f16_e32 v46, -0.5, v137
	v_fmac_f16_e32 v130, -0.5, v141
	v_add_f16_e32 v143, v59, v61
	v_sub_f16_e32 v61, v61, v112
	v_add_f16_e32 v149, v60, v62
	v_sub_f16_e32 v62, v62, v113
	v_sub_f16_e32 v116, v116, v118
	v_sub_f16_e32 v117, v117, v119
	v_add_f16_e32 v51, v135, v51
	v_add_f16_e32 v129, v140, v152
	v_fma_f16 v59, -0.5, v144, v59
	v_fmac_f16_e32 v133, -0.5, v147
	v_fmac_f16_e32 v60, -0.5, v150
	;; [unrolled: 1-line block ×3, first 2 shown]
	v_add_f16_e32 v118, v155, v118
	v_fma_f16 v114, -0.5, v157, v114
	v_add_f16_e32 v135, v159, v164
	v_fmac_f16_e32 v139, -0.5, v161
	v_add_f16_e32 v119, v162, v119
	v_fmac_f16_e32 v115, -0.5, v163
	;; [unrolled: 2-line block ×3, first 2 shown]
	v_fmamk_f16 v140, v131, 0x3aee, v45
	v_fmac_f16_e32 v45, 0xbaee, v131
	v_fmamk_f16 v131, v48, 0xbaee, v127
	v_fmac_f16_e32 v127, 0x3aee, v48
	v_add_f16_e32 v50, v128, v50
	v_add_f16_e32 v128, v132, v148
	v_fmamk_f16 v48, v138, 0x3aee, v46
	v_fmac_f16_e32 v46, 0xbaee, v138
	v_fmamk_f16 v138, v49, 0xbaee, v130
	v_fmac_f16_e32 v130, 0x3aee, v49
	v_add_f16_e32 v112, v143, v112
	v_add_f16_e32 v132, v146, v156
	;; [unrolled: 1-line block ×4, first 2 shown]
	v_fmamk_f16 v49, v145, 0x3aee, v59
	v_fmac_f16_e32 v59, 0xbaee, v145
	v_fmamk_f16 v141, v61, 0xbaee, v133
	v_fmac_f16_e32 v133, 0x3aee, v61
	;; [unrolled: 2-line block ×8, first 2 shown]
	v_pack_b32_f16 v117, v118, v135
	v_pack_b32_f16 v118, v119, v137
	;; [unrolled: 1-line block ×18, first 2 shown]
	ds_write_b32 v83, v119 offset:1584
	ds_write_b32 v83, v45 offset:3168
	ds_write2_b32 v83, v50, v51 offset1:66
	ds_write_b32 v83, v48 offset:1848
	ds_write_b32 v83, v46 offset:3432
	ds_write2_b32 v83, v112, v113 offset0:132 offset1:198
	ds_write2_b32 v124, v49, v61 offset0:16 offset1:82
	;; [unrolled: 1-line block ×6, first 2 shown]
	v_add_co_u32 v45, s0, 0x2000, v63
	s_waitcnt lgkmcnt(0)
	s_barrier
	buffer_gl0_inv
	s_clause 0x2
	global_load_dword v118, v[120:121], off offset:656
	global_load_dword v119, v[53:54], off offset:792
	;; [unrolled: 1-line block ×3, first 2 shown]
	v_add_co_ci_u32_e64 v46, s0, 0, v110, s0
	s_clause 0xe
	global_load_dword v63, v[122:123], off offset:984
	global_load_dword v110, v[122:123], off offset:1776
	;; [unrolled: 1-line block ×15, first 2 shown]
	ds_read2_b32 v[45:46], v83 offset1:66
	ds_read2_b32 v[48:49], v83 offset0:132 offset1:198
	ds_read2_b32 v[50:51], v31 offset0:140 offset1:206
	ds_read2_b32 v[53:54], v58 offset0:16 offset1:82
	ds_read2_b32 v[59:60], v57 offset0:24 offset1:90
	ds_read2_b32 v[61:62], v57 offset0:156 offset1:222
	ds_read2_b32 v[112:113], v31 offset0:8 offset1:74
	ds_read2_b32 v[114:115], v58 offset0:148 offset1:214
	ds_read2_b32 v[116:117], v47 offset0:32 offset1:98
	s_waitcnt lgkmcnt(8)
	v_lshrrev_b32_e32 v134, 16, v45
	v_lshrrev_b32_e32 v140, 16, v46
	s_waitcnt lgkmcnt(6)
	v_lshrrev_b32_e32 v136, 16, v50
	v_lshrrev_b32_e32 v142, 16, v51
	;; [unrolled: 3-line block ×3, first 2 shown]
	v_lshrrev_b32_e32 v135, 16, v49
	v_lshrrev_b32_e32 v146, 16, v48
	;; [unrolled: 1-line block ×3, first 2 shown]
	s_waitcnt lgkmcnt(3)
	v_lshrrev_b32_e32 v139, 16, v62
	s_waitcnt lgkmcnt(2)
	v_lshrrev_b32_e32 v141, 16, v112
	;; [unrolled: 2-line block ×4, first 2 shown]
	v_lshrrev_b32_e32 v147, 16, v113
	v_lshrrev_b32_e32 v148, 16, v53
	;; [unrolled: 1-line block ×5, first 2 shown]
	s_waitcnt vmcnt(14)
	v_mul_f16_sdwa v158, v137, v63 dst_sel:DWORD dst_unused:UNUSED_PAD src0_sel:DWORD src1_sel:WORD_1
	s_waitcnt vmcnt(13)
	v_mul_f16_sdwa v160, v138, v110 dst_sel:DWORD dst_unused:UNUSED_PAD src0_sel:DWORD src1_sel:WORD_1
	v_mul_f16_sdwa v161, v59, v110 dst_sel:DWORD dst_unused:UNUSED_PAD src0_sel:DWORD src1_sel:WORD_1
	s_waitcnt vmcnt(11)
	v_mul_f16_sdwa v164, v140, v124 dst_sel:DWORD dst_unused:UNUSED_PAD src0_sel:DWORD src1_sel:WORD_1
	;; [unrolled: 3-line block ×4, first 2 shown]
	v_mul_f16_sdwa v152, v134, v118 dst_sel:DWORD dst_unused:UNUSED_PAD src0_sel:DWORD src1_sel:WORD_1
	v_mul_f16_sdwa v153, v45, v118 dst_sel:DWORD dst_unused:UNUSED_PAD src0_sel:DWORD src1_sel:WORD_1
	;; [unrolled: 1-line block ×7, first 2 shown]
	s_waitcnt vmcnt(4)
	v_mul_f16_sdwa v176, v146, v131 dst_sel:DWORD dst_unused:UNUSED_PAD src0_sel:DWORD src1_sel:WORD_1
	v_mul_f16_sdwa v177, v48, v131 dst_sel:DWORD dst_unused:UNUSED_PAD src0_sel:DWORD src1_sel:WORD_1
	;; [unrolled: 1-line block ×12, first 2 shown]
	s_waitcnt vmcnt(1)
	v_mul_f16_sdwa v180, v148, v122 dst_sel:DWORD dst_unused:UNUSED_PAD src0_sel:DWORD src1_sel:WORD_1
	v_mul_f16_sdwa v181, v53, v122 dst_sel:DWORD dst_unused:UNUSED_PAD src0_sel:DWORD src1_sel:WORD_1
	;; [unrolled: 1-line block ×6, first 2 shown]
	s_waitcnt vmcnt(0)
	v_mul_f16_sdwa v186, v151, v123 dst_sel:DWORD dst_unused:UNUSED_PAD src0_sel:DWORD src1_sel:WORD_1
	v_mul_f16_sdwa v187, v117, v123 dst_sel:DWORD dst_unused:UNUSED_PAD src0_sel:DWORD src1_sel:WORD_1
	;; [unrolled: 1-line block ×3, first 2 shown]
	v_fma_f16 v45, v45, v118, -v152
	v_fmac_f16_e32 v153, v134, v118
	v_fma_f16 v46, v46, v124, -v164
	v_fmac_f16_e32 v165, v140, v124
	;; [unrolled: 2-line block ×11, first 2 shown]
	v_fma_f16 v110, v114, v127, -v170
	v_fma_f16 v112, v116, v129, -v174
	v_fmac_f16_e32 v175, v145, v129
	v_fma_f16 v113, v113, v130, -v178
	v_fmac_f16_e32 v179, v147, v130
	;; [unrolled: 2-line block ×6, first 2 shown]
	v_fmac_f16_e32 v171, v143, v127
	v_pack_b32_f16 v45, v45, v153
	v_pack_b32_f16 v46, v46, v165
	;; [unrolled: 1-line block ×18, first 2 shown]
	ds_write2_b32 v83, v45, v46 offset1:66
	ds_write2_b32 v31, v50, v51 offset0:140 offset1:206
	ds_write2_b32 v57, v59, v60 offset0:24 offset1:90
	;; [unrolled: 1-line block ×8, first 2 shown]
	s_waitcnt lgkmcnt(0)
	s_barrier
	buffer_gl0_inv
	ds_read2_b32 v[45:46], v83 offset0:132 offset1:198
	ds_read2_b32 v[48:49], v31 offset0:8 offset1:74
	;; [unrolled: 1-line block ×4, first 2 shown]
	ds_read2_b32 v[59:60], v83 offset1:66
	ds_read2_b32 v[61:62], v31 offset0:140 offset1:206
	ds_read2_b32 v[112:113], v57 offset0:24 offset1:90
	;; [unrolled: 1-line block ×4, first 2 shown]
	v_add_nc_u32_e32 v63, 0x200, v83
	v_add_nc_u32_e32 v117, 0x600, v83
	s_waitcnt lgkmcnt(0)
	s_barrier
	buffer_gl0_inv
	v_pk_add_f16 v47, v45, v50
	v_pk_add_f16 v110, v49, v54
	;; [unrolled: 1-line block ×6, first 2 shown]
	v_pk_add_f16 v124, v61, v112 neg_lo:[0,1] neg_hi:[0,1]
	v_pk_add_f16 v61, v51, v115
	v_pk_add_f16 v122, v46, v51
	;; [unrolled: 1-line block ×4, first 2 shown]
	v_pk_add_f16 v127, v53, v118 neg_lo:[0,1] neg_hi:[0,1]
	v_pk_add_f16 v53, v50, v114
	v_pk_add_f16 v128, v54, v119
	v_pk_add_f16 v51, v51, v115 neg_lo:[0,1] neg_hi:[0,1]
	v_pk_add_f16 v62, v62, v113 neg_lo:[0,1] neg_hi:[0,1]
	v_pk_add_f16 v47, v47, v114
	v_pk_add_f16 v110, v110, v119
	;; [unrolled: 1-line block ×3, first 2 shown]
	v_pk_fma_f16 v116, v123, 0.5, v59 op_sel_hi:[1,0,1] neg_lo:[1,0,0] neg_hi:[1,0,0]
	v_pk_fma_f16 v46, v61, 0.5, v46 op_sel_hi:[1,0,1] neg_lo:[1,0,0] neg_hi:[1,0,0]
	v_pk_add_f16 v50, v50, v114 neg_lo:[0,1] neg_hi:[0,1]
	v_pk_add_f16 v114, v120, v118
	v_pk_add_f16 v112, v121, v112
	;; [unrolled: 1-line block ×3, first 2 shown]
	v_pk_fma_f16 v118, v126, 0.5, v48 op_sel_hi:[1,0,1] neg_lo:[1,0,0] neg_hi:[1,0,0]
	v_pk_add_f16 v54, v54, v119 neg_lo:[0,1] neg_hi:[0,1]
	v_pk_fma_f16 v60, v125, 0.5, v60 op_sel_hi:[1,0,1] neg_lo:[1,0,0] neg_hi:[1,0,0]
	v_pk_fma_f16 v45, v53, 0.5, v45 op_sel_hi:[1,0,1] neg_lo:[1,0,0] neg_hi:[1,0,0]
	;; [unrolled: 1-line block ×3, first 2 shown]
	v_pk_add_f16 v53, v47, v110
	v_pk_add_f16 v48, v47, v110 neg_lo:[0,1] neg_hi:[0,1]
	v_pk_fma_f16 v47, 0x3aee, v124, v116 op_sel:[0,0,1] op_sel_hi:[0,1,0] neg_lo:[0,1,0] neg_hi:[0,1,0]
	v_pk_fma_f16 v110, 0x3aee, v124, v116 op_sel:[0,0,1] op_sel_hi:[0,1,0]
	v_pk_fma_f16 v116, 0x3aee, v51, v46 op_sel:[0,0,1] op_sel_hi:[0,1,0]
	v_pk_fma_f16 v46, 0x3aee, v51, v46 op_sel:[0,0,1] op_sel_hi:[0,1,0] neg_lo:[0,1,0] neg_hi:[0,1,0]
	v_pk_add_f16 v61, v112, v115
	v_pk_add_f16 v119, v112, v115 neg_lo:[0,1] neg_hi:[0,1]
	v_pk_fma_f16 v112, 0x3aee, v127, v118 op_sel:[0,0,1] op_sel_hi:[0,1,0] neg_lo:[0,1,0] neg_hi:[0,1,0]
	v_pk_add_f16 v59, v113, v114
	v_pk_fma_f16 v51, 0x3aee, v62, v60 op_sel:[0,0,1] op_sel_hi:[0,1,0] neg_lo:[0,1,0] neg_hi:[0,1,0]
	v_pk_fma_f16 v60, 0x3aee, v62, v60 op_sel:[0,0,1] op_sel_hi:[0,1,0]
	v_pk_fma_f16 v62, 0x3aee, v127, v118 op_sel:[0,0,1] op_sel_hi:[0,1,0]
	v_pk_add_f16 v121, v113, v114 neg_lo:[0,1] neg_hi:[0,1]
	v_pk_fma_f16 v113, 0x3aee, v50, v45 op_sel:[0,0,1] op_sel_hi:[0,1,0] neg_lo:[0,1,0] neg_hi:[0,1,0]
	v_pk_fma_f16 v50, 0x3aee, v50, v45 op_sel:[0,0,1] op_sel_hi:[0,1,0]
	v_pk_fma_f16 v45, 0x3aee, v54, v49 op_sel:[0,0,1] op_sel_hi:[0,1,0]
	v_pk_fma_f16 v49, 0x3aee, v54, v49 op_sel:[0,0,1] op_sel_hi:[0,1,0] neg_lo:[0,1,0] neg_hi:[0,1,0]
	v_lshrrev_b32_e32 v54, 16, v46
	v_mul_f16_e32 v114, 0xbaee, v116
	v_pk_mul_f16 v115, 0x3aee, v46 op_sel_hi:[0,1]
	v_lshrrev_b32_e32 v118, 16, v116
	v_mul_f16_e32 v46, -0.5, v46
	v_pk_mul_f16 v125, 0x3aee, v112 op_sel_hi:[0,1]
	v_lshrrev_b32_e32 v122, 16, v112
	v_lshrrev_b32_e32 v126, 16, v62
	v_mul_f16_e32 v112, -0.5, v112
	v_pk_mul_f16 v131, 0x3aee, v49 op_sel_hi:[0,1]
	v_mul_f16_e32 v124, 0xbaee, v62
	v_lshrrev_b32_e32 v129, 16, v49
	v_mul_f16_e32 v130, 0xbaee, v45
	v_fmac_f16_e32 v114, 0.5, v54
	v_pk_fma_f16 v54, 0xb8003800, v116, v115 op_sel:[0,0,1] op_sel_hi:[1,1,0]
	v_pk_fma_f16 v115, 0xb8003800, v116, v115 op_sel:[0,0,1] op_sel_hi:[1,1,0] neg_lo:[0,0,1] neg_hi:[0,0,1]
	v_fmac_f16_e32 v46, 0x3aee, v118
	v_pk_fma_f16 v116, 0xb8003800, v62, v125 op_sel:[0,0,1] op_sel_hi:[1,1,0]
	v_pk_fma_f16 v62, 0xb8003800, v62, v125 op_sel:[0,0,1] op_sel_hi:[1,1,0] neg_lo:[0,0,1] neg_hi:[0,0,1]
	v_lshrrev_b32_e32 v132, 16, v45
	v_mul_f16_e32 v49, -0.5, v49
	v_fmac_f16_e32 v112, 0x3aee, v126
	v_pk_fma_f16 v118, 0xb8003800, v45, v131 op_sel:[0,0,1] op_sel_hi:[1,1,0]
	v_pk_fma_f16 v45, 0xb8003800, v45, v131 op_sel:[0,0,1] op_sel_hi:[1,1,0] neg_lo:[0,0,1] neg_hi:[0,0,1]
	v_fmac_f16_e32 v124, 0.5, v122
	v_fmac_f16_e32 v130, 0.5, v129
	v_bfi_b32 v122, 0xffff, v54, v115
	v_alignbit_b32 v120, v110, v47, 16
	v_alignbit_b32 v123, v47, v110, 16
	v_add_f16_sdwa v125, v47, v114 dst_sel:DWORD dst_unused:UNUSED_PAD src0_sel:WORD_1 src1_sel:DWORD
	v_add_f16_e32 v47, v47, v46
	v_pack_b32_f16 v54, v114, v54
	v_alignbit_b32 v46, v46, v115, 16
	v_bfi_b32 v115, 0xffff, v116, v62
	v_fmac_f16_e32 v49, 0x3aee, v132
	v_add_f16_e32 v126, v51, v112
	v_alignbit_b32 v62, v112, v62, 16
	v_bfi_b32 v112, 0xffff, v118, v45
	v_alignbit_b32 v128, v51, v60, 16
	v_alignbit_b32 v133, v50, v113, 16
	v_pack_b32_f16 v118, v130, v118
	v_pk_add_f16 v110, v110, v122
	v_add_f16_sdwa v114, v51, v124 dst_sel:DWORD dst_unused:UNUSED_PAD src0_sel:WORD_1 src1_sel:DWORD
	v_pk_add_f16 v122, v120, v54 neg_lo:[0,1] neg_hi:[0,1]
	v_pk_add_f16 v54, v60, v115
	v_alignbit_b32 v127, v60, v51, 16
	v_pack_b32_f16 v116, v124, v116
	v_alignbit_b32 v134, v113, v50, 16
	v_add_f16_sdwa v51, v113, v130 dst_sel:DWORD dst_unused:UNUSED_PAD src0_sel:WORD_1 src1_sel:DWORD
	v_add_f16_e32 v113, v113, v49
	v_pk_add_f16 v115, v50, v112
	v_alignbit_b32 v124, v49, v45, 16
	v_pk_add_f16 v123, v123, v46 neg_lo:[0,1] neg_hi:[0,1]
	v_pk_add_f16 v46, v128, v62 neg_lo:[0,1] neg_hi:[0,1]
	;; [unrolled: 1-line block ×3, first 2 shown]
	v_alignbit_b32 v118, v47, v110, 16
	v_pack_b32_f16 v62, v125, v110
	v_alignbit_b32 v120, v126, v54, 16
	v_pack_b32_f16 v60, v114, v54
	v_pk_add_f16 v45, v127, v116 neg_lo:[0,1] neg_hi:[0,1]
	v_alignbit_b32 v47, v113, v115, 16
	v_pack_b32_f16 v54, v51, v115
	v_pk_add_f16 v50, v134, v124 neg_lo:[0,1] neg_hi:[0,1]
	ds_write_b64 v52, v[122:123] offset:16
	ds_write2_b64 v52, v[61:62], v[118:119] offset1:1
	ds_write2_b64 v56, v[59:60], v[120:121] offset1:1
	ds_write_b64 v56, v[45:46] offset:16
	ds_write2_b64 v55, v[53:54], v[47:48] offset1:1
	ds_write_b64 v55, v[49:50] offset:16
	s_waitcnt lgkmcnt(0)
	s_barrier
	buffer_gl0_inv
	ds_read2_b32 v[54:55], v83 offset1:108
	ds_read2_b32 v[62:63], v63 offset0:88 offset1:196
	ds_read2_b32 v[60:61], v117 offset0:48 offset1:156
	;; [unrolled: 1-line block ×4, first 2 shown]
	ds_read_b32 v116, v83 offset:4320
	v_lshrrev_b32_e32 v110, 16, v46
	v_lshrrev_b32_e32 v52, 16, v115
	;; [unrolled: 1-line block ×4, first 2 shown]
	s_and_saveexec_b32 s0, vcc_lo
	s_cbranch_execz .LBB0_7
; %bb.6:
	v_add_nc_u32_e32 v21, 0xa00, v83
	v_add_nc_u32_e32 v22, 0xe00, v83
	ds_read2_b32 v[46:47], v83 offset0:66 offset1:174
	ds_read2_b32 v[51:52], v31 offset0:26 offset1:134
	;; [unrolled: 1-line block ×3, first 2 shown]
	ds_read_b32 v106, v83 offset:4584
	ds_read2_b32 v[31:32], v21 offset0:74 offset1:182
	ds_read2_b32 v[21:22], v22 offset0:34 offset1:142
	s_waitcnt lgkmcnt(5)
	v_lshrrev_b32_e32 v110, 16, v46
	s_waitcnt lgkmcnt(4)
	v_lshrrev_b32_e32 v115, 16, v51
	v_lshrrev_b32_e32 v113, 16, v52
	s_waitcnt lgkmcnt(3)
	v_lshrrev_b32_e32 v112, 16, v49
	s_waitcnt lgkmcnt(2)
	v_lshrrev_b32_e32 v108, 16, v106
	v_mov_b32_e32 v53, v47
	s_waitcnt lgkmcnt(1)
	v_lshrrev_b32_e32 v114, 16, v31
	v_lshrrev_b32_e32 v105, 16, v32
	s_waitcnt lgkmcnt(0)
	v_lshrrev_b32_e32 v107, 16, v21
	v_lshrrev_b32_e32 v109, 16, v22
	v_mov_b32_e32 v50, v31
.LBB0_7:
	s_or_b32 exec_lo, exec_lo, s0
	s_waitcnt lgkmcnt(5)
	v_lshrrev_b32_e32 v117, 16, v55
	s_waitcnt lgkmcnt(4)
	v_lshrrev_b32_e32 v118, 16, v62
	;; [unrolled: 2-line block ×3, first 2 shown]
	v_mul_f16_sdwa v126, v8, v55 dst_sel:DWORD dst_unused:UNUSED_PAD src0_sel:WORD_1 src1_sel:DWORD
	v_lshrrev_b32_e32 v119, 16, v63
	v_mul_f16_sdwa v125, v8, v117 dst_sel:DWORD dst_unused:UNUSED_PAD src0_sel:WORD_1 src1_sel:DWORD
	v_mul_f16_sdwa v128, v9, v118 dst_sel:DWORD dst_unused:UNUSED_PAD src0_sel:WORD_1 src1_sel:DWORD
	v_lshrrev_b32_e32 v121, 16, v61
	s_waitcnt lgkmcnt(2)
	v_lshrrev_b32_e32 v122, 16, v58
	v_lshrrev_b32_e32 v123, 16, v59
	v_fmac_f16_e32 v125, v8, v55
	v_mul_f16_sdwa v55, v9, v62 dst_sel:DWORD dst_unused:UNUSED_PAD src0_sel:WORD_1 src1_sel:DWORD
	v_fma_f16 v8, v8, v117, -v126
	v_fmac_f16_e32 v128, v9, v62
	v_mul_f16_sdwa v126, v11, v120 dst_sel:DWORD dst_unused:UNUSED_PAD src0_sel:WORD_1 src1_sel:DWORD
	v_mul_f16_sdwa v62, v10, v119 dst_sel:DWORD dst_unused:UNUSED_PAD src0_sel:WORD_1 src1_sel:DWORD
	v_fma_f16 v9, v9, v118, -v55
	v_mul_f16_sdwa v55, v11, v60 dst_sel:DWORD dst_unused:UNUSED_PAD src0_sel:WORD_1 src1_sel:DWORD
	v_mul_f16_sdwa v117, v10, v63 dst_sel:DWORD dst_unused:UNUSED_PAD src0_sel:WORD_1 src1_sel:DWORD
	v_fmac_f16_e32 v126, v11, v60
	v_mul_f16_sdwa v60, v12, v121 dst_sel:DWORD dst_unused:UNUSED_PAD src0_sel:WORD_1 src1_sel:DWORD
	v_fmac_f16_e32 v62, v10, v63
	v_fma_f16 v11, v11, v120, -v55
	v_add_f16_e32 v55, v54, v125
	v_fma_f16 v10, v10, v119, -v117
	v_mul_f16_sdwa v63, v12, v61 dst_sel:DWORD dst_unused:UNUSED_PAD src0_sel:WORD_1 src1_sel:DWORD
	v_mul_f16_sdwa v117, v13, v122 dst_sel:DWORD dst_unused:UNUSED_PAD src0_sel:WORD_1 src1_sel:DWORD
	v_fmac_f16_e32 v60, v12, v61
	v_add_f16_sdwa v61, v54, v8 dst_sel:DWORD dst_unused:UNUSED_PAD src0_sel:WORD_1 src1_sel:DWORD
	v_add_f16_e32 v55, v55, v128
	s_waitcnt lgkmcnt(1)
	v_lshrrev_b32_e32 v124, 16, v56
	v_fmac_f16_e32 v117, v13, v58
	v_mul_f16_sdwa v58, v13, v58 dst_sel:DWORD dst_unused:UNUSED_PAD src0_sel:WORD_1 src1_sel:DWORD
	v_add_f16_e32 v61, v61, v9
	v_add_f16_e32 v55, v55, v62
	v_fma_f16 v12, v12, v121, -v63
	v_mul_f16_sdwa v63, v14, v123 dst_sel:DWORD dst_unused:UNUSED_PAD src0_sel:WORD_1 src1_sel:DWORD
	v_fma_f16 v13, v13, v122, -v58
	v_add_f16_e32 v58, v61, v10
	v_add_f16_e32 v55, v55, v126
	v_lshrrev_b32_e32 v127, 16, v57
	v_mul_f16_sdwa v118, v14, v59 dst_sel:DWORD dst_unused:UNUSED_PAD src0_sel:WORD_1 src1_sel:DWORD
	v_fmac_f16_e32 v63, v14, v59
	v_mul_f16_sdwa v59, v15, v124 dst_sel:DWORD dst_unused:UNUSED_PAD src0_sel:WORD_1 src1_sel:DWORD
	v_add_f16_e32 v58, v58, v11
	v_add_f16_e32 v55, v55, v60
	s_waitcnt lgkmcnt(0)
	v_lshrrev_b32_e32 v129, 16, v116
	v_fma_f16 v14, v14, v123, -v118
	v_mul_f16_sdwa v61, v15, v56 dst_sel:DWORD dst_unused:UNUSED_PAD src0_sel:WORD_1 src1_sel:DWORD
	v_mul_f16_sdwa v118, v19, v127 dst_sel:DWORD dst_unused:UNUSED_PAD src0_sel:WORD_1 src1_sel:DWORD
	v_fmac_f16_e32 v59, v15, v56
	v_add_f16_e32 v56, v58, v12
	v_add_f16_e32 v55, v55, v117
	v_mul_f16_sdwa v58, v20, v116 dst_sel:DWORD dst_unused:UNUSED_PAD src0_sel:WORD_1 src1_sel:DWORD
	v_fma_f16 v15, v15, v124, -v61
	v_fmac_f16_e32 v118, v19, v57
	v_add_f16_e32 v56, v56, v13
	v_add_f16_e32 v55, v55, v63
	v_mul_f16_sdwa v57, v19, v57 dst_sel:DWORD dst_unused:UNUSED_PAD src0_sel:WORD_1 src1_sel:DWORD
	v_mul_f16_sdwa v61, v20, v129 dst_sel:DWORD dst_unused:UNUSED_PAD src0_sel:WORD_1 src1_sel:DWORD
	v_fma_f16 v58, v20, v129, -v58
	v_add_f16_e32 v56, v56, v14
	v_add_f16_e32 v55, v55, v59
	v_fma_f16 v19, v19, v127, -v57
	v_fmac_f16_e32 v61, v20, v116
	v_sub_f16_e32 v20, v8, v58
	v_add_f16_e32 v56, v56, v15
	v_add_f16_e32 v55, v55, v118
	;; [unrolled: 1-line block ×4, first 2 shown]
	v_mul_f16_e32 v119, 0xb853, v20
	v_sub_f16_e32 v136, v9, v19
	v_add_nc_u32_e32 v47, 0x210, v111
	v_add_nc_u32_e32 v45, 0x318, v111
	;; [unrolled: 1-line block ×3, first 2 shown]
	v_add_f16_e32 v56, v56, v19
	v_sub_f16_e32 v120, v125, v61
	v_mul_f16_e32 v121, 0x3abb, v57
	v_add_nc_u32_e32 v8, 0x528, v111
	v_fmamk_f16 v111, v116, 0x3abb, v119
	v_add_f16_e32 v55, v55, v61
	v_mul_f16_e32 v61, 0xbb47, v20
	v_mul_f16_e32 v123, 0x36a6, v57
	;; [unrolled: 1-line block ×8, first 2 shown]
	v_add_f16_e32 v138, v128, v118
	v_mul_f16_e32 v139, 0xbb47, v136
	v_add_f16_e32 v9, v9, v19
	v_add_f16_e32 v56, v56, v58
	v_fmamk_f16 v58, v120, 0x3853, v121
	v_add_f16_e32 v111, v54, v111
	v_fma_f16 v119, v116, 0x3abb, -v119
	v_fmac_f16_e32 v121, 0xb853, v120
	v_fmamk_f16 v122, v116, 0x36a6, v61
	v_fmamk_f16 v125, v120, 0x3b47, v123
	v_fma_f16 v61, v116, 0x36a6, -v61
	v_fmac_f16_e32 v123, 0xbb47, v120
	v_fmamk_f16 v127, v116, 0xb08e, v124
	v_fmamk_f16 v130, v120, 0x3beb, v129
	;; [unrolled: 4-line block ×4, first 2 shown]
	v_fma_f16 v19, v116, 0xbbad, -v20
	v_fmac_f16_e32 v57, 0xb482, v120
	v_sub_f16_e32 v20, v128, v118
	v_fmamk_f16 v116, v138, 0x36a6, v139
	v_mul_f16_e32 v118, 0x36a6, v9
	v_add_f16_sdwa v58, v54, v58 dst_sel:DWORD dst_unused:UNUSED_PAD src0_sel:WORD_1 src1_sel:DWORD
	v_add_f16_e32 v119, v54, v119
	v_add_f16_sdwa v121, v54, v121 dst_sel:DWORD dst_unused:UNUSED_PAD src0_sel:WORD_1 src1_sel:DWORD
	v_add_f16_e32 v122, v54, v122
	;; [unrolled: 2-line block ×10, first 2 shown]
	v_fmamk_f16 v111, v20, 0x3b47, v118
	v_mul_f16_e32 v116, 0xba0c, v136
	v_fma_f16 v128, v138, 0x36a6, -v139
	v_fmac_f16_e32 v118, 0xbb47, v20
	v_mul_f16_e32 v137, 0xb93d, v9
	v_add_f16_e32 v58, v111, v58
	v_fmamk_f16 v111, v138, 0xb93d, v116
	v_add_f16_e32 v119, v128, v119
	v_add_f16_e32 v118, v118, v121
	v_fmamk_f16 v121, v20, 0x3a0c, v137
	v_mul_f16_e32 v128, 0x3482, v136
	v_add_f16_e32 v111, v111, v122
	v_fma_f16 v116, v138, 0xb93d, -v116
	v_fmac_f16_e32 v137, 0xba0c, v20
	v_add_f16_e32 v121, v121, v125
	v_fmamk_f16 v122, v138, 0xbbad, v128
	v_mul_f16_e32 v125, 0xbbad, v9
	v_add_f16_e32 v61, v116, v61
	v_add_f16_e32 v116, v137, v123
	v_mul_f16_e32 v123, 0x3beb, v136
	v_add_f16_e32 v122, v122, v127
	v_fmamk_f16 v127, v20, 0xb482, v125
	v_fmac_f16_e32 v125, 0x3482, v20
	v_mul_f16_e32 v139, 0xb08e, v9
	v_fmamk_f16 v137, v138, 0xb08e, v123
	v_mul_f16_e32 v9, 0x3abb, v9
	v_fma_f16 v123, v138, 0xb08e, -v123
	v_add_f16_e32 v125, v125, v129
	v_fmamk_f16 v129, v20, 0xbbeb, v139
	v_fmac_f16_e32 v139, 0x3beb, v20
	v_fma_f16 v128, v138, 0xbbad, -v128
	v_add_f16_e32 v127, v127, v130
	v_mul_f16_e32 v130, 0x3853, v136
	v_add_f16_e32 v129, v129, v134
	v_fmamk_f16 v134, v20, 0xb853, v9
	v_add_f16_e32 v123, v123, v131
	v_add_f16_e32 v131, v139, v132
	v_sub_f16_e32 v132, v10, v15
	v_add_f16_e32 v10, v10, v15
	v_add_f16_e32 v124, v128, v124
	v_add_f16_e32 v128, v137, v133
	v_fmamk_f16 v133, v138, 0x3abb, v130
	v_add_f16_e32 v120, v134, v120
	v_add_f16_e32 v134, v62, v59
	v_mul_f16_e32 v15, 0xbbeb, v132
	v_fma_f16 v130, v138, 0x3abb, -v130
	v_fmac_f16_e32 v9, 0x3853, v20
	v_sub_f16_e32 v20, v62, v59
	v_mul_f16_e32 v59, 0xb08e, v10
	v_fmamk_f16 v62, v134, 0xb08e, v15
	v_add_f16_e32 v19, v130, v19
	v_add_f16_e32 v9, v9, v54
	v_mul_f16_e32 v54, 0x3482, v132
	v_fmamk_f16 v130, v20, 0x3beb, v59
	v_add_f16_e32 v57, v62, v57
	v_fma_f16 v15, v134, 0xb08e, -v15
	v_fmac_f16_e32 v59, 0xbbeb, v20
	v_fmamk_f16 v62, v134, 0xbbad, v54
	v_add_f16_e32 v58, v130, v58
	v_mul_f16_e32 v130, 0xbbad, v10
	v_add_f16_e32 v15, v15, v119
	v_add_f16_e32 v59, v59, v118
	;; [unrolled: 1-line block ×3, first 2 shown]
	v_mul_f16_e32 v111, 0x3b47, v132
	v_fmamk_f16 v118, v20, 0xb482, v130
	v_fma_f16 v54, v134, 0xbbad, -v54
	v_fmac_f16_e32 v130, 0x3482, v20
	v_mul_f16_e32 v119, 0x36a6, v10
	v_add_f16_e32 v133, v133, v135
	v_fmamk_f16 v135, v134, 0x36a6, v111
	v_add_f16_e32 v54, v54, v61
	v_add_f16_e32 v61, v130, v116
	v_fmamk_f16 v116, v20, 0xbb47, v119
	v_add_f16_e32 v118, v118, v121
	v_add_f16_e32 v121, v135, v122
	v_mul_f16_e32 v122, 0xb853, v132
	v_fma_f16 v111, v134, 0x36a6, -v111
	v_fmac_f16_e32 v119, 0x3b47, v20
	v_add_f16_e32 v116, v116, v127
	v_mul_f16_e32 v127, 0x3abb, v10
	v_fmamk_f16 v130, v134, 0x3abb, v122
	v_add_f16_e32 v111, v111, v124
	v_add_f16_e32 v119, v119, v125
	v_mul_f16_e32 v124, 0xba0c, v132
	v_fmamk_f16 v125, v20, 0x3853, v127
	v_add_f16_e32 v128, v130, v128
	v_fma_f16 v122, v134, 0x3abb, -v122
	v_fmac_f16_e32 v127, 0xb853, v20
	v_fmamk_f16 v130, v134, 0xb93d, v124
	v_add_f16_e32 v125, v125, v129
	v_mul_f16_e32 v10, 0xb93d, v10
	v_sub_f16_e32 v129, v11, v14
	v_add_f16_e32 v11, v11, v14
	v_add_f16_e32 v122, v122, v123
	;; [unrolled: 1-line block ×4, first 2 shown]
	v_fmamk_f16 v130, v20, 0x3a0c, v10
	v_fma_f16 v124, v134, 0xb93d, -v124
	v_add_f16_e32 v14, v126, v63
	v_mul_f16_e32 v131, 0xba0c, v129
	v_fmac_f16_e32 v10, 0xba0c, v20
	v_sub_f16_e32 v20, v126, v63
	v_mul_f16_e32 v63, 0xb93d, v11
	v_add_f16_e32 v19, v124, v19
	v_fmamk_f16 v126, v14, 0xb93d, v131
	v_add_f16_e32 v9, v10, v9
	v_mul_f16_e32 v124, 0x3beb, v129
	v_fmamk_f16 v10, v20, 0x3a0c, v63
	v_fmac_f16_e32 v63, 0xba0c, v20
	v_add_f16_e32 v120, v130, v120
	v_add_f16_e32 v57, v126, v57
	v_fma_f16 v126, v14, 0xb93d, -v131
	v_add_f16_e32 v10, v10, v58
	v_fmamk_f16 v58, v14, 0xb08e, v124
	v_mul_f16_e32 v130, 0xb08e, v11
	v_add_f16_e32 v59, v63, v59
	v_mul_f16_e32 v63, 0xb853, v129
	v_add_f16_e32 v15, v126, v15
	v_add_f16_e32 v58, v58, v62
	v_fmamk_f16 v62, v20, 0xbbeb, v130
	v_fma_f16 v124, v14, 0xb08e, -v124
	v_fmamk_f16 v126, v14, 0x3abb, v63
	v_mul_f16_e32 v131, 0x3abb, v11
	v_fma_f16 v63, v14, 0x3abb, -v63
	v_add_f16_e32 v62, v62, v118
	v_add_f16_e32 v54, v124, v54
	v_add_f16_e32 v118, v126, v121
	v_fmamk_f16 v121, v20, 0x3853, v131
	v_mul_f16_e32 v124, 0xb482, v129
	v_fmac_f16_e32 v131, 0xb853, v20
	v_mul_f16_e32 v126, 0xbbad, v11
	v_add_f16_e32 v63, v63, v111
	v_add_f16_e32 v116, v121, v116
	v_fmamk_f16 v121, v14, 0xbbad, v124
	v_add_f16_e32 v111, v131, v119
	v_fmamk_f16 v119, v20, 0x3482, v126
	v_mul_f16_e32 v129, 0x3b47, v129
	v_fma_f16 v124, v14, 0xbbad, -v124
	v_fmac_f16_e32 v126, 0xb482, v20
	v_mul_f16_e32 v11, 0x36a6, v11
	v_add_f16_e32 v119, v119, v125
	v_fmamk_f16 v125, v14, 0x36a6, v129
	v_add_f16_e32 v122, v124, v122
	v_sub_f16_e32 v124, v12, v13
	v_add_f16_e32 v12, v12, v13
	v_fmac_f16_e32 v130, 0x3beb, v20
	v_add_f16_e32 v123, v126, v123
	v_add_f16_e32 v125, v125, v127
	v_fmamk_f16 v126, v20, 0xbb47, v11
	v_add_f16_e32 v127, v60, v117
	v_mul_f16_e32 v13, 0xb482, v124
	v_fmac_f16_e32 v11, 0x3b47, v20
	v_sub_f16_e32 v20, v60, v117
	v_mul_f16_e32 v60, 0xbbad, v12
	v_fma_f16 v14, v14, 0x36a6, -v129
	v_fmamk_f16 v117, v127, 0xbbad, v13
	v_add_f16_e32 v9, v11, v9
	v_fma_f16 v13, v127, 0xbbad, -v13
	v_fmamk_f16 v11, v20, 0x3482, v60
	v_add_f16_e32 v14, v14, v19
	v_add_f16_e32 v19, v117, v57
	v_mul_f16_e32 v57, 0x3853, v124
	v_fmac_f16_e32 v60, 0xb482, v20
	v_add_f16_e32 v10, v11, v10
	v_mul_f16_e32 v11, 0x3abb, v12
	v_add_f16_e32 v13, v13, v15
	v_fmamk_f16 v117, v127, 0x3abb, v57
	v_add_f16_e32 v15, v60, v59
	v_mul_f16_e32 v59, 0xba0c, v124
	v_fmamk_f16 v60, v20, 0xb853, v11
	v_add_f16_e32 v61, v130, v61
	v_add_f16_e32 v58, v117, v58
	v_fma_f16 v57, v127, 0x3abb, -v57
	v_fmac_f16_e32 v11, 0x3853, v20
	v_fmamk_f16 v117, v127, 0xb93d, v59
	v_add_f16_e32 v60, v60, v62
	v_mul_f16_e32 v62, 0xb93d, v12
	v_add_f16_e32 v54, v57, v54
	v_add_f16_e32 v11, v11, v61
	;; [unrolled: 1-line block ×3, first 2 shown]
	v_mul_f16_e32 v61, 0x3b47, v124
	v_fmamk_f16 v117, v20, 0x3a0c, v62
	v_fma_f16 v59, v127, 0xb93d, -v59
	v_mul_f16_e32 v118, 0x36a6, v12
	v_add_f16_e32 v121, v121, v128
	v_add_f16_e32 v120, v126, v120
	v_fmac_f16_e32 v62, 0xba0c, v20
	v_fmamk_f16 v126, v127, 0x36a6, v61
	v_add_f16_e32 v116, v117, v116
	v_add_f16_e32 v59, v59, v63
	v_fmamk_f16 v63, v20, 0xbb47, v118
	v_mul_f16_e32 v117, 0xbbeb, v124
	v_mul_f16_e32 v12, 0xb08e, v12
	v_add_f16_e32 v62, v62, v111
	v_add_f16_e32 v111, v126, v121
	v_add_f16_e32 v63, v63, v119
	v_fmamk_f16 v119, v127, 0xb08e, v117
	v_fmamk_f16 v121, v20, 0x3beb, v12
	v_fma_f16 v61, v127, 0x36a6, -v61
	v_fmac_f16_e32 v118, 0x3b47, v20
	v_fma_f16 v117, v127, 0xb08e, -v117
	v_fmac_f16_e32 v12, 0xbbeb, v20
	v_pack_b32_f16 v55, v55, v56
	v_pack_b32_f16 v10, v19, v10
	v_add_f16_e32 v119, v119, v125
	v_add_f16_e32 v20, v121, v120
	;; [unrolled: 1-line block ×6, first 2 shown]
	s_barrier
	buffer_gl0_inv
	ds_write2_b32 v87, v55, v10 offset1:6
	v_pack_b32_f16 v10, v58, v60
	v_pack_b32_f16 v12, v57, v116
	;; [unrolled: 1-line block ×9, first 2 shown]
	ds_write2_b32 v87, v10, v12 offset0:12 offset1:18
	ds_write2_b32 v87, v19, v20 offset0:24 offset1:30
	ds_write2_b32 v87, v9, v14 offset0:36 offset1:42
	ds_write2_b32 v87, v55, v11 offset0:48 offset1:54
	ds_write_b32 v87, v13 offset:240
	s_and_saveexec_b32 s0, vcc_lo
	s_cbranch_execz .LBB0_9
; %bb.8:
	v_lshrrev_b32_e32 v9, 16, v53
	v_mul_f16_sdwa v10, v18, v108 dst_sel:DWORD dst_unused:UNUSED_PAD src0_sel:WORD_1 src1_sel:DWORD
	v_mul_f16_sdwa v11, v18, v106 dst_sel:DWORD dst_unused:UNUSED_PAD src0_sel:WORD_1 src1_sel:DWORD
	;; [unrolled: 1-line block ×7, first 2 shown]
	v_fmac_f16_e32 v10, v18, v106
	v_mul_f16_sdwa v19, v17, v22 dst_sel:DWORD dst_unused:UNUSED_PAD src0_sel:WORD_1 src1_sel:DWORD
	v_fmac_f16_e32 v14, v0, v53
	v_fma_f16 v11, v18, v108, -v11
	v_fma_f16 v9, v0, v9, -v12
	v_fmac_f16_e32 v13, v1, v51
	v_fmac_f16_e32 v15, v17, v22
	v_sub_f16_e32 v12, v14, v10
	v_fma_f16 v1, v1, v115, -v20
	v_mul_f16_sdwa v20, v2, v113 dst_sel:DWORD dst_unused:UNUSED_PAD src0_sel:WORD_1 src1_sel:DWORD
	v_mul_f16_sdwa v22, v7, v107 dst_sel:DWORD dst_unused:UNUSED_PAD src0_sel:WORD_1 src1_sel:DWORD
	v_fma_f16 v17, v17, v109, -v19
	v_add_f16_e32 v18, v11, v9
	v_sub_f16_e32 v0, v13, v15
	v_mul_f16_e32 v19, 0xb482, v12
	v_mul_f16_sdwa v55, v7, v21 dst_sel:DWORD dst_unused:UNUSED_PAD src0_sel:WORD_1 src1_sel:DWORD
	v_lshrrev_b32_e32 v56, 16, v48
	v_fmac_f16_e32 v20, v2, v52
	v_fmac_f16_e32 v22, v7, v21
	v_mul_f16_sdwa v21, v2, v52 dst_sel:DWORD dst_unused:UNUSED_PAD src0_sel:WORD_1 src1_sel:DWORD
	v_mul_f16_sdwa v52, v6, v105 dst_sel:DWORD dst_unused:UNUSED_PAD src0_sel:WORD_1 src1_sel:DWORD
	v_add_f16_e32 v51, v17, v1
	v_mul_f16_e32 v53, 0x3853, v0
	v_fmamk_f16 v54, v18, 0xbbad, v19
	v_mul_f16_sdwa v58, v3, v56 dst_sel:DWORD dst_unused:UNUSED_PAD src0_sel:WORD_1 src1_sel:DWORD
	v_fma_f16 v2, v2, v113, -v21
	v_fmac_f16_e32 v52, v6, v32
	v_mul_f16_sdwa v21, v6, v32 dst_sel:DWORD dst_unused:UNUSED_PAD src0_sel:WORD_1 src1_sel:DWORD
	v_mul_f16_sdwa v32, v3, v48 dst_sel:DWORD dst_unused:UNUSED_PAD src0_sel:WORD_1 src1_sel:DWORD
	v_sub_f16_e32 v62, v9, v11
	v_fmamk_f16 v57, v51, 0x3abb, v53
	v_add_f16_e32 v54, v110, v54
	v_fma_f16 v7, v7, v107, -v55
	v_fmac_f16_e32 v58, v3, v48
	v_fma_f16 v6, v6, v105, -v21
	v_fma_f16 v3, v3, v56, -v32
	v_mul_f16_sdwa v21, v4, v112 dst_sel:DWORD dst_unused:UNUSED_PAD src0_sel:WORD_1 src1_sel:DWORD
	v_mul_f16_sdwa v32, v5, v114 dst_sel:DWORD dst_unused:UNUSED_PAD src0_sel:WORD_1 src1_sel:DWORD
	v_add_f16_e32 v87, v10, v14
	v_mul_f16_e32 v105, 0xb482, v62
	v_sub_f16_e32 v106, v1, v17
	v_add_f16_e32 v54, v57, v54
	v_sub_f16_e32 v57, v20, v22
	v_fmac_f16_e32 v21, v4, v49
	v_fmac_f16_e32 v32, v5, v50
	v_fma_f16 v107, v87, 0xbbad, -v105
	v_add_f16_e32 v108, v15, v13
	v_mul_f16_e32 v109, 0x3853, v106
	v_mul_f16_sdwa v50, v5, v50 dst_sel:DWORD dst_unused:UNUSED_PAD src0_sel:WORD_1 src1_sel:DWORD
	v_sub_f16_e32 v111, v2, v7
	v_mul_f16_sdwa v49, v4, v49 dst_sel:DWORD dst_unused:UNUSED_PAD src0_sel:WORD_1 src1_sel:DWORD
	v_mul_f16_e32 v48, 0xba0c, v57
	v_add_f16_e32 v55, v7, v2
	v_sub_f16_e32 v59, v58, v52
	v_add_f16_e32 v107, v46, v107
	v_fma_f16 v113, v108, 0x3abb, -v109
	v_add_f16_e32 v115, v22, v20
	v_mul_f16_e32 v116, 0xba0c, v111
	v_fma_f16 v5, v5, v114, -v50
	v_sub_f16_e32 v50, v3, v6
	v_fma_f16 v4, v4, v112, -v49
	v_fma_f16 v19, v18, 0xbbad, -v19
	v_fmac_f16_e32 v105, 0xbbad, v87
	v_fmamk_f16 v56, v55, 0xb93d, v48
	v_mul_f16_e32 v60, 0x3b47, v59
	v_add_f16_e32 v61, v6, v3
	v_add_f16_e32 v49, v113, v107
	v_fma_f16 v107, v115, 0xb93d, -v116
	v_add_f16_e32 v112, v52, v58
	v_mul_f16_e32 v113, 0x3b47, v50
	v_sub_f16_e32 v117, v4, v5
	v_add_f16_e32 v19, v110, v19
	v_fma_f16 v53, v51, 0x3abb, -v53
	v_add_f16_e32 v105, v46, v105
	v_fmac_f16_e32 v109, 0x3abb, v108
	v_add_f16_e32 v54, v56, v54
	v_fmamk_f16 v56, v61, 0x36a6, v60
	v_sub_f16_e32 v63, v21, v32
	v_add_f16_e32 v49, v107, v49
	v_fma_f16 v107, v112, 0x36a6, -v113
	v_add_f16_e32 v118, v32, v21
	v_mul_f16_e32 v119, 0xbbeb, v117
	v_add_f16_e32 v19, v53, v19
	v_fma_f16 v48, v55, 0xb93d, -v48
	v_add_f16_e32 v105, v109, v105
	v_fmac_f16_e32 v116, 0xb93d, v115
	v_add_f16_e32 v54, v56, v54
	v_mul_f16_e32 v56, 0xbbeb, v63
	v_add_f16_e32 v114, v5, v4
	v_add_f16_e32 v49, v107, v49
	v_fma_f16 v107, v118, 0xb08e, -v119
	v_mul_f16_e32 v53, 0xb93d, v18
	v_add_f16_e32 v19, v48, v19
	v_fma_f16 v48, v61, 0x36a6, -v60
	v_add_f16_e32 v105, v116, v105
	v_fmac_f16_e32 v113, 0x36a6, v112
	v_fmamk_f16 v120, v114, 0xb08e, v56
	v_add_f16_e32 v49, v107, v49
	v_fmamk_f16 v60, v12, 0x3a0c, v53
	v_mul_f16_e32 v107, 0xb08e, v51
	v_add_f16_e32 v19, v48, v19
	v_fma_f16 v56, v114, 0xb08e, -v56
	v_add_f16_e32 v105, v113, v105
	v_fmac_f16_e32 v119, 0xb08e, v118
	v_mul_f16_e32 v113, 0xba0c, v62
	v_add_f16_e32 v48, v110, v60
	v_fmamk_f16 v60, v0, 0xbbeb, v107
	v_mul_f16_e32 v109, 0x3abb, v55
	v_add_f16_e32 v19, v56, v19
	v_add_f16_e32 v56, v119, v105
	v_fmamk_f16 v105, v87, 0xb93d, v113
	v_mul_f16_e32 v119, 0x3beb, v106
	v_add_f16_e32 v48, v60, v48
	v_fmamk_f16 v60, v57, 0x3853, v109
	v_mul_f16_e32 v116, 0xbbad, v61
	;; [unrolled: 3-line block ×4, first 2 shown]
	v_add_f16_e32 v105, v121, v105
	v_fmamk_f16 v121, v115, 0x3abb, v122
	v_add_f16_e32 v54, v120, v54
	v_add_f16_e32 v48, v60, v48
	v_mul_f16_e32 v60, 0x36a6, v114
	v_mul_f16_e32 v120, 0xb08e, v18
	v_add_f16_e32 v105, v121, v105
	v_fmamk_f16 v121, v112, 0xbbad, v126
	v_mul_f16_e32 v129, 0x3b47, v117
	v_fmamk_f16 v123, v63, 0xbb47, v60
	v_fmamk_f16 v124, v12, 0x3beb, v120
	v_mul_f16_e32 v125, 0xbbad, v51
	v_add_f16_e32 v105, v121, v105
	v_fmamk_f16 v121, v118, 0x36a6, v129
	v_mul_f16_e32 v131, 0xbbeb, v62
	v_add_f16_e32 v124, v110, v124
	;; [unrolled: 3-line block ×3, first 2 shown]
	v_add_f16_e32 v105, v121, v105
	v_fmamk_f16 v121, v87, 0xb08e, v131
	v_mul_f16_e32 v123, 0x3482, v106
	v_add_f16_e32 v124, v127, v124
	v_fmamk_f16 v127, v57, 0xbb47, v128
	v_mul_f16_e32 v130, 0x3abb, v61
	;; [unrolled: 3-line block ×5, first 2 shown]
	v_add_f16_e32 v124, v127, v124
	v_mul_f16_e32 v127, 0xb93d, v114
	v_mul_f16_e32 v143, 0xbb47, v62
	v_add_f16_e32 v121, v133, v121
	v_fmamk_f16 v133, v112, 0x3abb, v138
	v_mul_f16_e32 v132, 0x36a6, v18
	v_fmamk_f16 v135, v63, 0x3a0c, v127
	v_mul_f16_e32 v145, 0x3482, v111
	v_mul_f16_e32 v137, 0xb93d, v51
	v_add_f16_e32 v121, v133, v121
	v_fmamk_f16 v133, v118, 0xb93d, v141
	v_add_f16_e32 v124, v135, v124
	v_mul_f16_e32 v135, 0xba0c, v106
	v_fmamk_f16 v136, v12, 0x3b47, v132
	v_mul_f16_e32 v148, 0x3beb, v50
	v_add_f16_e32 v121, v133, v121
	v_fmamk_f16 v133, v87, 0x36a6, v143
	v_fmamk_f16 v144, v108, 0xb93d, v135
	v_add_f16_e32 v136, v110, v136
	v_fmamk_f16 v139, v0, 0x3a0c, v137
	v_mul_f16_e32 v140, 0xbbad, v55
	v_add_f16_e32 v133, v46, v133
	v_mul_f16_e32 v150, 0x3853, v117
	v_add_f16_e32 v14, v46, v14
	v_add_f16_e32 v136, v139, v136
	v_fmamk_f16 v139, v57, 0xb482, v140
	v_add_f16_e32 v133, v144, v133
	v_fmamk_f16 v144, v115, 0xbbad, v145
	v_mul_f16_e32 v142, 0xb08e, v61
	v_mul_f16_e32 v62, 0xb853, v62
	v_add_f16_e32 v13, v13, v14
	v_add_f16_e32 v136, v139, v136
	;; [unrolled: 1-line block ×3, first 2 shown]
	v_fmamk_f16 v144, v112, 0xb08e, v148
	v_fmamk_f16 v139, v59, 0xbbeb, v142
	v_mul_f16_e32 v106, 0xbb47, v106
	v_add_f16_e32 v13, v20, v13
	v_add_f16_e32 v9, v9, v110
	;; [unrolled: 1-line block ×3, first 2 shown]
	v_fmamk_f16 v144, v118, 0x3abb, v150
	v_add_f16_e32 v136, v139, v136
	v_mul_f16_e32 v139, 0x3abb, v114
	v_mul_f16_e32 v20, 0xbbad, v114
	v_add_f16_e32 v13, v58, v13
	v_add_f16_e32 v14, v144, v133
	v_fmamk_f16 v144, v87, 0x3abb, v62
	v_add_f16_e32 v1, v1, v9
	v_mul_f16_e32 v9, 0xbbeb, v111
	v_add_f16_e32 v13, v21, v13
	v_mul_f16_e32 v21, 0xba0c, v50
	v_add_f16_e32 v114, v46, v144
	v_fmamk_f16 v144, v108, 0x36a6, v106
	v_add_f16_e32 v1, v2, v1
	v_fmamk_f16 v2, v115, 0xb08e, v9
	v_add_f16_e32 v13, v32, v13
	v_mul_f16_e32 v32, 0xb482, v117
	v_add_f16_e32 v111, v144, v114
	v_add_f16_e32 v1, v3, v1
	v_fmamk_f16 v3, v112, 0xb93d, v21
	v_add_f16_e32 v13, v52, v13
	v_fmac_f16_e32 v120, 0xbbeb, v12
	v_add_f16_e32 v2, v2, v111
	v_add_f16_e32 v1, v4, v1
	v_fmac_f16_e32 v125, 0x3482, v0
	v_add_f16_e32 v4, v22, v13
	v_fmac_f16_e32 v132, 0xbb47, v12
	v_add_f16_e32 v2, v3, v2
	v_fmamk_f16 v3, v118, 0xbbad, v32
	v_add_f16_e32 v1, v5, v1
	v_add_f16_e32 v4, v15, v4
	v_add_f16_e32 v13, v110, v132
	v_fmac_f16_e32 v137, 0xba0c, v0
	v_add_f16_e32 v2, v3, v2
	v_fma_f16 v3, v87, 0xb93d, -v113
	v_add_f16_e32 v1, v6, v1
	v_fma_f16 v6, v108, 0xb08e, -v119
	;; [unrolled: 2-line block ×3, first 2 shown]
	v_add_f16_e32 v3, v46, v3
	v_add_f16_e32 v1, v7, v1
	;; [unrolled: 1-line block ×3, first 2 shown]
	v_mul_f16_e32 v18, 0x3abb, v18
	v_fmac_f16_e32 v140, 0x3482, v57
	v_add_f16_e32 v3, v6, v3
	v_fma_f16 v6, v115, 0x3abb, -v122
	v_add_f16_e32 v1, v17, v1
	v_fmamk_f16 v147, v12, 0x3853, v18
	v_mul_f16_e32 v51, 0x36a6, v51
	v_fmac_f16_e32 v142, 0x3beb, v59
	v_add_f16_e32 v3, v6, v3
	v_fma_f16 v6, v112, 0xbbad, -v126
	v_add_f16_e32 v1, v11, v1
	v_fma_f16 v11, v118, 0x36a6, -v129
	v_fma_f16 v15, v108, 0xb93d, -v135
	v_add_f16_e32 v147, v110, v147
	v_add_f16_e32 v3, v6, v3
	;; [unrolled: 1-line block ×4, first 2 shown]
	v_fma_f16 v10, v108, 0xbbad, -v123
	v_fmamk_f16 v149, v0, 0x3b47, v51
	v_add_f16_e32 v3, v11, v3
	v_add_f16_e32 v11, v137, v13
	v_fma_f16 v13, v87, 0x36a6, -v143
	v_add_f16_e32 v7, v10, v7
	v_fma_f16 v10, v115, 0x36a6, -v134
	v_mul_f16_e32 v55, 0xb08e, v55
	v_add_f16_e32 v11, v140, v11
	v_add_f16_e32 v13, v46, v13
	v_fmac_f16_e32 v53, 0xba0c, v12
	v_add_f16_e32 v7, v10, v7
	v_fma_f16 v10, v112, 0x3abb, -v138
	v_fmac_f16_e32 v18, 0xb853, v12
	v_fma_f16 v12, v115, 0xbbad, -v145
	v_add_f16_e32 v147, v149, v147
	v_fmamk_f16 v149, v57, 0x3beb, v55
	v_add_f16_e32 v7, v10, v7
	v_fma_f16 v10, v118, 0xb93d, -v141
	v_mul_f16_e32 v61, 0xb93d, v61
	v_add_f16_e32 v5, v110, v53
	v_fmac_f16_e32 v107, 0x3beb, v0
	v_fmac_f16_e32 v51, 0xbb47, v0
	v_add_f16_e32 v7, v10, v7
	v_add_f16_e32 v10, v142, v11
	;; [unrolled: 1-line block ×3, first 2 shown]
	v_fma_f16 v13, v87, 0x3abb, -v62
	v_add_f16_e32 v15, v110, v18
	v_add_f16_e32 v147, v149, v147
	v_fmamk_f16 v149, v59, 0x3a0c, v61
	v_add_f16_e32 v0, v12, v11
	v_add_f16_e32 v11, v46, v13
	v_fma_f16 v12, v108, 0x36a6, -v106
	v_fma_f16 v13, v112, 0xb08e, -v148
	v_mov_b32_e32 v17, 0x42
	v_add_f16_e32 v5, v107, v5
	v_fmac_f16_e32 v109, 0xb853, v57
	v_fmac_f16_e32 v128, 0x3b47, v57
	v_add_f16_e32 v15, v51, v15
	v_fmac_f16_e32 v55, 0xbbeb, v57
	v_add_f16_e32 v11, v12, v11
	v_fma_f16 v9, v115, 0xb08e, -v9
	v_add_f16_e32 v133, v149, v147
	v_fmamk_f16 v58, v63, 0x3482, v20
	v_add_f16_e32 v0, v13, v0
	v_mul_u32_u24_sdwa v13, v85, v17 dst_sel:DWORD dst_unused:UNUSED_PAD src0_sel:WORD_0 src1_sel:DWORD
	v_add_f16_e32 v5, v109, v5
	v_fmac_f16_e32 v116, 0xb482, v59
	v_add_f16_e32 v6, v128, v6
	v_fmac_f16_e32 v130, 0xb853, v59
	;; [unrolled: 2-line block ×3, first 2 shown]
	v_add_f16_e32 v9, v9, v11
	v_fma_f16 v11, v112, 0xb93d, -v21
	v_fmamk_f16 v146, v63, 0xb853, v139
	v_add_f16_e32 v50, v58, v133
	v_add_nc_u32_sdwa v13, v13, v86 dst_sel:DWORD dst_unused:UNUSED_PAD src0_sel:DWORD src1_sel:BYTE_0
	v_add_f16_e32 v5, v116, v5
	v_fmac_f16_e32 v60, 0x3b47, v63
	v_add_f16_e32 v6, v130, v6
	v_fmac_f16_e32 v127, 0xba0c, v63
	v_fmac_f16_e32 v139, 0x3853, v63
	v_fma_f16 v15, v118, 0x3abb, -v150
	v_add_f16_e32 v12, v61, v12
	v_fmac_f16_e32 v20, 0xb482, v63
	v_add_f16_e32 v9, v11, v9
	v_fma_f16 v11, v118, 0xbbad, -v32
	v_add_f16_e32 v136, v146, v136
	v_lshl_add_u32 v13, v13, 2, v84
	v_pack_b32_f16 v1, v4, v1
	v_pack_b32_f16 v2, v2, v50
	v_add_f16_e32 v5, v60, v5
	v_add_f16_e32 v6, v127, v6
	;; [unrolled: 1-line block ×6, first 2 shown]
	ds_write2_b32 v13, v1, v2 offset1:6
	v_pack_b32_f16 v1, v14, v136
	v_pack_b32_f16 v2, v121, v124
	;; [unrolled: 1-line block ×9, first 2 shown]
	ds_write2_b32 v13, v1, v2 offset0:12 offset1:18
	ds_write2_b32 v13, v11, v12 offset0:24 offset1:30
	;; [unrolled: 1-line block ×4, first 2 shown]
	ds_write_b32 v13, v4 offset:240
.LBB0_9:
	s_or_b32 exec_lo, exec_lo, s0
	v_add_nc_u32_e32 v11, 0x800, v83
	v_add_nc_u32_e32 v0, 0xc00, v83
	;; [unrolled: 1-line block ×3, first 2 shown]
	s_waitcnt lgkmcnt(0)
	s_barrier
	buffer_gl0_inv
	ds_read2_b32 v[1:2], v83 offset1:66
	ds_read2_b32 v[3:4], v83 offset0:132 offset1:198
	ds_read2_b32 v[5:6], v11 offset0:16 offset1:82
	;; [unrolled: 1-line block ×6, first 2 shown]
	v_add_nc_u32_e32 v10, 0x1000, v83
	ds_read2_b32 v[48:49], v12 offset0:140 offset1:206
	ds_read2_b32 v[50:51], v10 offset0:32 offset1:98
	s_waitcnt lgkmcnt(0)
	s_barrier
	buffer_gl0_inv
	s_mov_b32 s2, 0x2b18ff23
	s_mov_b32 s3, 0x3f4b951e
	v_lshrrev_b32_e32 v46, 16, v6
	v_lshrrev_b32_e32 v52, 16, v13
	;; [unrolled: 1-line block ×3, first 2 shown]
	v_mul_f16_sdwa v86, v88, v6 dst_sel:DWORD dst_unused:UNUSED_PAD src0_sel:WORD_1 src1_sel:DWORD
	v_lshrrev_b32_e32 v54, 16, v17
	v_mul_f16_sdwa v62, v88, v46 dst_sel:DWORD dst_unused:UNUSED_PAD src0_sel:WORD_1 src1_sel:DWORD
	v_mul_f16_sdwa v87, v88, v13 dst_sel:DWORD dst_unused:UNUSED_PAD src0_sel:WORD_1 src1_sel:DWORD
	;; [unrolled: 1-line block ×3, first 2 shown]
	v_fma_f16 v46, v88, v46, -v86
	v_mul_f16_sdwa v86, v95, v14 dst_sel:DWORD dst_unused:UNUSED_PAD src0_sel:WORD_1 src1_sel:DWORD
	v_fmac_f16_e32 v62, v88, v6
	v_mul_f16_sdwa v6, v88, v52 dst_sel:DWORD dst_unused:UNUSED_PAD src0_sel:WORD_1 src1_sel:DWORD
	v_lshrrev_b32_e32 v56, 16, v18
	v_lshrrev_b32_e32 v58, 16, v21
	v_fmac_f16_e32 v105, v95, v14
	v_mul_f16_sdwa v14, v93, v54 dst_sel:DWORD dst_unused:UNUSED_PAD src0_sel:WORD_1 src1_sel:DWORD
	v_fmac_f16_e32 v6, v88, v13
	v_fma_f16 v13, v88, v52, -v87
	v_fma_f16 v52, v95, v53, -v86
	v_mul_f16_sdwa v53, v93, v17 dst_sel:DWORD dst_unused:UNUSED_PAD src0_sel:WORD_1 src1_sel:DWORD
	v_lshrrev_b32_e32 v60, 16, v22
	v_lshrrev_b32_e32 v63, 16, v50
	v_mul_f16_sdwa v86, v94, v56 dst_sel:DWORD dst_unused:UNUSED_PAD src0_sel:WORD_1 src1_sel:DWORD
	v_mul_f16_sdwa v87, v94, v18 dst_sel:DWORD dst_unused:UNUSED_PAD src0_sel:WORD_1 src1_sel:DWORD
	v_fmac_f16_e32 v14, v93, v17
	v_mul_f16_sdwa v17, v92, v58 dst_sel:DWORD dst_unused:UNUSED_PAD src0_sel:WORD_1 src1_sel:DWORD
	v_fma_f16 v53, v93, v54, -v53
	v_mul_f16_sdwa v54, v92, v21 dst_sel:DWORD dst_unused:UNUSED_PAD src0_sel:WORD_1 src1_sel:DWORD
	v_lshrrev_b32_e32 v85, 16, v51
	v_fmac_f16_e32 v86, v94, v18
	v_fma_f16 v18, v94, v56, -v87
	v_fmac_f16_e32 v17, v92, v21
	v_mul_f16_sdwa v21, v91, v60 dst_sel:DWORD dst_unused:UNUSED_PAD src0_sel:WORD_1 src1_sel:DWORD
	v_mul_f16_sdwa v56, v91, v22 dst_sel:DWORD dst_unused:UNUSED_PAD src0_sel:WORD_1 src1_sel:DWORD
	;; [unrolled: 1-line block ×3, first 2 shown]
	v_fma_f16 v54, v92, v58, -v54
	v_mul_f16_sdwa v58, v90, v50 dst_sel:DWORD dst_unused:UNUSED_PAD src0_sel:WORD_1 src1_sel:DWORD
	v_lshrrev_b32_e32 v7, 16, v1
	v_lshrrev_b32_e32 v9, 16, v2
	;; [unrolled: 1-line block ×3, first 2 shown]
	v_fmac_f16_e32 v21, v91, v22
	v_fma_f16 v22, v91, v60, -v56
	v_fmac_f16_e32 v87, v90, v50
	v_mul_f16_sdwa v50, v89, v85 dst_sel:DWORD dst_unused:UNUSED_PAD src0_sel:WORD_1 src1_sel:DWORD
	v_fma_f16 v56, v90, v63, -v58
	v_mul_f16_sdwa v58, v89, v51 dst_sel:DWORD dst_unused:UNUSED_PAD src0_sel:WORD_1 src1_sel:DWORD
	v_lshrrev_b32_e32 v32, 16, v4
	v_lshrrev_b32_e32 v55, 16, v19
	v_sub_f16_e32 v60, v1, v62
	v_sub_f16_e32 v46, v7, v46
	v_lshrrev_b32_e32 v57, 16, v20
	v_sub_f16_e32 v6, v2, v6
	v_sub_f16_e32 v13, v9, v13
	v_lshrrev_b32_e32 v59, 16, v48
	v_fmac_f16_e32 v50, v89, v51
	v_fma_f16 v51, v89, v85, -v58
	v_sub_f16_e32 v58, v3, v105
	v_sub_f16_e32 v52, v15, v52
	v_lshrrev_b32_e32 v61, 16, v49
	v_sub_f16_e32 v14, v4, v14
	v_sub_f16_e32 v53, v32, v53
	v_lshrrev_b32_e32 v84, 16, v5
	v_fma_f16 v1, v1, 2.0, -v60
	v_fma_f16 v7, v7, 2.0, -v46
	v_sub_f16_e32 v62, v19, v86
	v_sub_f16_e32 v18, v55, v18
	v_fma_f16 v2, v2, 2.0, -v6
	v_fma_f16 v9, v9, 2.0, -v13
	v_sub_f16_e32 v17, v20, v17
	v_sub_f16_e32 v54, v57, v54
	;; [unrolled: 4-line block ×4, first 2 shown]
	v_sub_f16_e32 v50, v5, v50
	v_sub_f16_e32 v51, v84, v51
	v_fma_f16 v19, v19, 2.0, -v62
	v_fma_f16 v55, v55, 2.0, -v18
	v_pack_b32_f16 v1, v1, v7
	v_pack_b32_f16 v7, v60, v46
	v_fma_f16 v20, v20, 2.0, -v17
	v_fma_f16 v57, v57, 2.0, -v54
	v_pack_b32_f16 v2, v2, v9
	v_pack_b32_f16 v6, v6, v13
	;; [unrolled: 4-line block ×3, first 2 shown]
	v_add_nc_u32_e32 v13, 0x400, v104
	v_fma_f16 v49, v49, 2.0, -v63
	v_fma_f16 v61, v61, 2.0, -v56
	v_pack_b32_f16 v4, v4, v32
	v_pack_b32_f16 v14, v14, v53
	v_add_nc_u32_e32 v15, 0x400, v103
	v_fma_f16 v5, v5, 2.0, -v50
	v_fma_f16 v84, v84, 2.0, -v51
	ds_write2_b32 v83, v1, v7 offset1:66
	ds_write2_b32 v83, v2, v6 offset0:132 offset1:198
	ds_write2_b32 v13, v3, v9 offset0:8 offset1:74
	;; [unrolled: 1-line block ×3, first 2 shown]
	v_pack_b32_f16 v1, v19, v55
	v_pack_b32_f16 v2, v62, v18
	v_add_nc_u32_e32 v3, 0x800, v102
	v_pack_b32_f16 v4, v20, v57
	v_pack_b32_f16 v6, v17, v54
	v_add_nc_u32_e32 v7, 0x800, v101
	;; [unrolled: 3-line block ×5, first 2 shown]
	ds_write2_b32 v3, v1, v2 offset0:16 offset1:82
	ds_write2_b32 v7, v4, v6 offset0:148 offset1:214
	;; [unrolled: 1-line block ×5, first 2 shown]
	s_waitcnt lgkmcnt(0)
	s_barrier
	buffer_gl0_inv
	ds_read2_b32 v[1:2], v83 offset1:66
	ds_read2_b32 v[3:4], v12 offset0:140 offset1:206
	ds_read2_b32 v[5:6], v0 offset0:24 offset1:90
	;; [unrolled: 1-line block ×8, first 2 shown]
	s_waitcnt lgkmcnt(0)
	s_barrier
	buffer_gl0_inv
	v_lshrrev_b32_e32 v7, 16, v1
	v_lshrrev_b32_e32 v9, 16, v3
	;; [unrolled: 1-line block ×4, first 2 shown]
	v_mul_f16_sdwa v85, v29, v3 dst_sel:DWORD dst_unused:UNUSED_PAD src0_sel:WORD_1 src1_sel:DWORD
	v_lshrrev_b32_e32 v52, 16, v6
	v_mul_f16_sdwa v63, v29, v9 dst_sel:DWORD dst_unused:UNUSED_PAD src0_sel:WORD_1 src1_sel:DWORD
	v_mul_f16_sdwa v87, v30, v15 dst_sel:DWORD dst_unused:UNUSED_PAD src0_sel:WORD_1 src1_sel:DWORD
	v_lshrrev_b32_e32 v54, 16, v17
	v_fma_f16 v9, v29, v9, -v85
	v_mul_f16_sdwa v85, v27, v46 dst_sel:DWORD dst_unused:UNUSED_PAD src0_sel:WORD_1 src1_sel:DWORD
	v_fmac_f16_e32 v63, v29, v3
	v_mul_f16_sdwa v3, v30, v5 dst_sel:DWORD dst_unused:UNUSED_PAD src0_sel:WORD_1 src1_sel:DWORD
	v_fmac_f16_e32 v87, v30, v5
	v_mul_f16_sdwa v5, v27, v4 dst_sel:DWORD dst_unused:UNUSED_PAD src0_sel:WORD_1 src1_sel:DWORD
	v_lshrrev_b32_e32 v55, 16, v19
	v_fmac_f16_e32 v85, v27, v4
	v_fma_f16 v3, v30, v15, -v3
	v_mul_f16_sdwa v15, v28, v52 dst_sel:DWORD dst_unused:UNUSED_PAD src0_sel:WORD_1 src1_sel:DWORD
	v_mul_f16_sdwa v4, v28, v6 dst_sel:DWORD dst_unused:UNUSED_PAD src0_sel:WORD_1 src1_sel:DWORD
	v_fma_f16 v5, v27, v46, -v5
	v_mul_f16_sdwa v46, v29, v54 dst_sel:DWORD dst_unused:UNUSED_PAD src0_sel:WORD_1 src1_sel:DWORD
	v_lshrrev_b32_e32 v57, 16, v18
	v_lshrrev_b32_e32 v58, 16, v20
	v_fmac_f16_e32 v15, v28, v6
	v_mul_f16_sdwa v6, v29, v17 dst_sel:DWORD dst_unused:UNUSED_PAD src0_sel:WORD_1 src1_sel:DWORD
	v_fma_f16 v4, v28, v52, -v4
	v_mul_f16_sdwa v52, v30, v55 dst_sel:DWORD dst_unused:UNUSED_PAD src0_sel:WORD_1 src1_sel:DWORD
	v_fmac_f16_e32 v46, v29, v17
	v_mul_f16_sdwa v17, v30, v19 dst_sel:DWORD dst_unused:UNUSED_PAD src0_sel:WORD_1 src1_sel:DWORD
	v_lshrrev_b32_e32 v60, 16, v48
	v_fma_f16 v6, v29, v54, -v6
	v_mul_f16_sdwa v29, v27, v57 dst_sel:DWORD dst_unused:UNUSED_PAD src0_sel:WORD_1 src1_sel:DWORD
	v_fmac_f16_e32 v52, v30, v19
	v_mul_f16_sdwa v19, v27, v18 dst_sel:DWORD dst_unused:UNUSED_PAD src0_sel:WORD_1 src1_sel:DWORD
	v_fma_f16 v17, v30, v55, -v17
	v_mul_f16_sdwa v30, v28, v58 dst_sel:DWORD dst_unused:UNUSED_PAD src0_sel:WORD_1 src1_sel:DWORD
	v_lshrrev_b32_e32 v61, 16, v50
	v_lshrrev_b32_e32 v84, 16, v49
	v_fmac_f16_e32 v29, v27, v18
	v_mul_f16_sdwa v18, v28, v20 dst_sel:DWORD dst_unused:UNUSED_PAD src0_sel:WORD_1 src1_sel:DWORD
	v_fma_f16 v19, v27, v57, -v19
	v_mul_f16_sdwa v27, v25, v60 dst_sel:DWORD dst_unused:UNUSED_PAD src0_sel:WORD_1 src1_sel:DWORD
	v_fmac_f16_e32 v30, v28, v20
	v_mul_f16_sdwa v20, v25, v48 dst_sel:DWORD dst_unused:UNUSED_PAD src0_sel:WORD_1 src1_sel:DWORD
	v_lshrrev_b32_e32 v86, 16, v51
	v_fma_f16 v18, v28, v58, -v18
	v_mul_f16_sdwa v28, v26, v61 dst_sel:DWORD dst_unused:UNUSED_PAD src0_sel:WORD_1 src1_sel:DWORD
	v_fmac_f16_e32 v27, v25, v48
	v_mul_f16_sdwa v48, v26, v50 dst_sel:DWORD dst_unused:UNUSED_PAD src0_sel:WORD_1 src1_sel:DWORD
	v_fma_f16 v20, v25, v60, -v20
	v_mul_f16_sdwa v25, v23, v84 dst_sel:DWORD dst_unused:UNUSED_PAD src0_sel:WORD_1 src1_sel:DWORD
	v_fmac_f16_e32 v28, v26, v50
	v_mul_f16_sdwa v50, v23, v49 dst_sel:DWORD dst_unused:UNUSED_PAD src0_sel:WORD_1 src1_sel:DWORD
	;; [unrolled: 4-line block ×3, first 2 shown]
	v_fma_f16 v23, v23, v84, -v50
	v_add_f16_e32 v50, v63, v87
	v_fmac_f16_e32 v48, v24, v51
	v_add_f16_e32 v51, v1, v63
	v_fma_f16 v24, v24, v86, -v49
	v_add_f16_e32 v49, v9, v3
	v_fma_f16 v1, -0.5, v50, v1
	v_sub_f16_e32 v50, v9, v3
	v_add_f16_e32 v9, v7, v9
	v_lshrrev_b32_e32 v32, 16, v2
	v_fmac_f16_e32 v7, -0.5, v49
	v_sub_f16_e32 v49, v63, v87
	v_fmamk_f16 v54, v50, 0xbaee, v1
	v_fmac_f16_e32 v1, 0x3aee, v50
	v_add_f16_e32 v3, v9, v3
	v_add_f16_e32 v9, v85, v15
	v_fmamk_f16 v50, v49, 0x3aee, v7
	v_add_f16_e32 v55, v2, v85
	v_fmac_f16_e32 v7, 0xbaee, v49
	v_add_f16_e32 v49, v5, v4
	v_fmac_f16_e32 v2, -0.5, v9
	v_sub_f16_e32 v9, v5, v4
	v_add_f16_e32 v55, v55, v15
	v_add_f16_e32 v5, v32, v5
	v_fmac_f16_e32 v32, -0.5, v49
	v_sub_f16_e32 v15, v85, v15
	v_lshrrev_b32_e32 v53, 16, v13
	v_fmamk_f16 v49, v9, 0xbaee, v2
	v_fmac_f16_e32 v2, 0x3aee, v9
	v_add_f16_e32 v4, v5, v4
	v_add_f16_e32 v5, v46, v52
	v_fmamk_f16 v9, v15, 0x3aee, v32
	v_fmac_f16_e32 v32, 0xbaee, v15
	v_add_f16_e32 v15, v6, v17
	v_add_f16_e32 v57, v13, v46
	v_fma_f16 v5, -0.5, v5, v13
	v_sub_f16_e32 v13, v6, v17
	v_add_f16_e32 v6, v53, v6
	v_fmac_f16_e32 v53, -0.5, v15
	v_sub_f16_e32 v15, v46, v52
	v_lshrrev_b32_e32 v56, 16, v14
	v_fmamk_f16 v46, v13, 0xbaee, v5
	v_fmac_f16_e32 v5, 0x3aee, v13
	v_add_f16_e32 v6, v6, v17
	v_add_f16_e32 v13, v29, v30
	v_fmamk_f16 v17, v15, 0x3aee, v53
	v_fmac_f16_e32 v53, 0xbaee, v15
	v_add_f16_e32 v15, v19, v18
	v_add_f16_e32 v57, v57, v52
	;; [unrolled: 1-line block ×3, first 2 shown]
	v_fmac_f16_e32 v14, -0.5, v13
	v_sub_f16_e32 v13, v19, v18
	v_add_f16_e32 v19, v56, v19
	v_fmac_f16_e32 v56, -0.5, v15
	v_sub_f16_e32 v15, v29, v30
	v_lshrrev_b32_e32 v59, 16, v21
	v_fmamk_f16 v29, v13, 0xbaee, v14
	v_fmac_f16_e32 v14, 0x3aee, v13
	v_add_f16_e32 v13, v19, v18
	v_add_f16_e32 v18, v27, v28
	v_fmamk_f16 v19, v15, 0x3aee, v56
	v_fmac_f16_e32 v56, 0xbaee, v15
	v_add_f16_e32 v15, v20, v26
	v_add_f16_e32 v52, v52, v30
	;; [unrolled: 1-line block ×3, first 2 shown]
	v_fma_f16 v18, -0.5, v18, v21
	v_sub_f16_e32 v21, v20, v26
	v_add_f16_e32 v20, v59, v20
	v_fmac_f16_e32 v59, -0.5, v15
	v_sub_f16_e32 v15, v27, v28
	v_lshrrev_b32_e32 v62, 16, v22
	v_add_f16_e32 v51, v51, v87
	v_fmamk_f16 v27, v21, 0xbaee, v18
	v_fmac_f16_e32 v18, 0x3aee, v21
	v_add_f16_e32 v20, v20, v26
	v_add_f16_e32 v21, v25, v48
	v_fmamk_f16 v26, v15, 0x3aee, v59
	v_fmac_f16_e32 v59, 0xbaee, v15
	v_add_f16_e32 v15, v23, v24
	v_add_f16_e32 v30, v30, v28
	;; [unrolled: 1-line block ×3, first 2 shown]
	v_fmac_f16_e32 v22, -0.5, v21
	v_sub_f16_e32 v21, v23, v24
	v_add_f16_e32 v23, v62, v23
	v_fmac_f16_e32 v62, -0.5, v15
	v_sub_f16_e32 v15, v25, v48
	v_pack_b32_f16 v3, v51, v3
	v_pack_b32_f16 v4, v55, v4
	v_add_f16_e32 v25, v28, v48
	v_fmamk_f16 v28, v21, 0xbaee, v22
	v_fmac_f16_e32 v22, 0x3aee, v21
	v_add_f16_e32 v21, v23, v24
	v_fmamk_f16 v23, v15, 0x3aee, v62
	v_fmac_f16_e32 v62, 0xbaee, v15
	v_pack_b32_f16 v15, v54, v50
	ds_write2_b32 v83, v3, v4 offset1:66
	v_pack_b32_f16 v3, v49, v9
	v_pack_b32_f16 v1, v1, v7
	;; [unrolled: 1-line block ×7, first 2 shown]
	ds_write2_b32 v83, v15, v3 offset0:132 offset1:198
	ds_write2_b32 v12, v1, v2 offset0:8 offset1:74
	v_pack_b32_f16 v1, v5, v53
	v_pack_b32_f16 v2, v14, v56
	ds_write2_b32 v12, v4, v7 offset0:140 offset1:206
	ds_write2_b32 v11, v6, v9 offset0:16 offset1:82
	v_pack_b32_f16 v3, v30, v20
	v_pack_b32_f16 v4, v27, v26
	v_add_nc_u32_e32 v5, 0xc00, v97
	v_pack_b32_f16 v6, v18, v59
	v_pack_b32_f16 v7, v25, v21
	;; [unrolled: 1-line block ×3, first 2 shown]
	v_add_nc_u32_e32 v13, 0xc00, v96
	v_pack_b32_f16 v14, v22, v62
	ds_write2_b32 v11, v1, v2 offset0:148 offset1:214
	ds_write2_b32 v5, v3, v4 offset0:24 offset1:156
	ds_write_b32 v97, v6 offset:4224
	ds_write2_b32 v13, v7, v9 offset0:24 offset1:156
	ds_write_b32 v96, v14 offset:4224
	s_waitcnt lgkmcnt(0)
	s_barrier
	buffer_gl0_inv
	ds_read2_b32 v[1:2], v83 offset1:66
	ds_read2_b32 v[3:4], v12 offset0:140 offset1:206
	ds_read2_b32 v[5:6], v0 offset0:24 offset1:90
	;; [unrolled: 1-line block ×8, first 2 shown]
	s_waitcnt lgkmcnt(8)
	v_lshrrev_b32_e32 v7, 16, v1
	s_waitcnt lgkmcnt(7)
	v_lshrrev_b32_e32 v9, 16, v3
	;; [unrolled: 2-line block ×3, first 2 shown]
	v_lshrrev_b32_e32 v28, 16, v4
	v_mul_f16_sdwa v57, v35, v3 dst_sel:DWORD dst_unused:UNUSED_PAD src0_sel:WORD_1 src1_sel:DWORD
	v_lshrrev_b32_e32 v29, 16, v6
	v_mul_f16_sdwa v55, v35, v9 dst_sel:DWORD dst_unused:UNUSED_PAD src0_sel:WORD_1 src1_sel:DWORD
	v_mul_f16_sdwa v59, v36, v15 dst_sel:DWORD dst_unused:UNUSED_PAD src0_sel:WORD_1 src1_sel:DWORD
	s_waitcnt lgkmcnt(4)
	v_lshrrev_b32_e32 v32, 16, v17
	v_fma_f16 v9, v35, v9, -v57
	s_waitcnt lgkmcnt(3)
	v_lshrrev_b32_e32 v46, 16, v19
	v_fmac_f16_e32 v55, v35, v3
	v_mul_f16_sdwa v3, v36, v5 dst_sel:DWORD dst_unused:UNUSED_PAD src0_sel:WORD_1 src1_sel:DWORD
	v_mul_f16_sdwa v35, v43, v28 dst_sel:DWORD dst_unused:UNUSED_PAD src0_sel:WORD_1 src1_sel:DWORD
	v_fmac_f16_e32 v59, v36, v5
	v_mul_f16_sdwa v5, v43, v4 dst_sel:DWORD dst_unused:UNUSED_PAD src0_sel:WORD_1 src1_sel:DWORD
	v_lshrrev_b32_e32 v49, 16, v18
	v_fma_f16 v3, v36, v15, -v3
	v_mul_f16_sdwa v15, v44, v29 dst_sel:DWORD dst_unused:UNUSED_PAD src0_sel:WORD_1 src1_sel:DWORD
	v_fmac_f16_e32 v35, v43, v4
	v_mul_f16_sdwa v4, v44, v6 dst_sel:DWORD dst_unused:UNUSED_PAD src0_sel:WORD_1 src1_sel:DWORD
	v_lshrrev_b32_e32 v50, 16, v20
	v_fma_f16 v5, v43, v28, -v5
	v_mul_f16_sdwa v28, v41, v32 dst_sel:DWORD dst_unused:UNUSED_PAD src0_sel:WORD_1 src1_sel:DWORD
	v_fmac_f16_e32 v15, v44, v6
	v_mul_f16_sdwa v6, v41, v17 dst_sel:DWORD dst_unused:UNUSED_PAD src0_sel:WORD_1 src1_sel:DWORD
	v_fma_f16 v4, v44, v29, -v4
	v_mul_f16_sdwa v29, v42, v46 dst_sel:DWORD dst_unused:UNUSED_PAD src0_sel:WORD_1 src1_sel:DWORD
	s_waitcnt lgkmcnt(1)
	v_lshrrev_b32_e32 v52, 16, v23
	v_fmac_f16_e32 v28, v41, v17
	v_mul_f16_sdwa v17, v42, v19 dst_sel:DWORD dst_unused:UNUSED_PAD src0_sel:WORD_1 src1_sel:DWORD
	v_fma_f16 v6, v41, v32, -v6
	v_mul_f16_sdwa v32, v39, v49 dst_sel:DWORD dst_unused:UNUSED_PAD src0_sel:WORD_1 src1_sel:DWORD
	v_fmac_f16_e32 v29, v42, v19
	v_mul_f16_sdwa v19, v39, v18 dst_sel:DWORD dst_unused:UNUSED_PAD src0_sel:WORD_1 src1_sel:DWORD
	v_mul_f16_sdwa v36, v40, v50 dst_sel:DWORD dst_unused:UNUSED_PAD src0_sel:WORD_1 src1_sel:DWORD
	s_waitcnt lgkmcnt(0)
	v_lshrrev_b32_e32 v53, 16, v25
	v_lshrrev_b32_e32 v56, 16, v24
	v_fmac_f16_e32 v32, v39, v18
	v_mul_f16_sdwa v18, v40, v20 dst_sel:DWORD dst_unused:UNUSED_PAD src0_sel:WORD_1 src1_sel:DWORD
	v_fma_f16 v19, v39, v49, -v19
	v_mul_f16_sdwa v39, v37, v52 dst_sel:DWORD dst_unused:UNUSED_PAD src0_sel:WORD_1 src1_sel:DWORD
	v_fmac_f16_e32 v36, v40, v20
	v_mul_f16_sdwa v20, v37, v23 dst_sel:DWORD dst_unused:UNUSED_PAD src0_sel:WORD_1 src1_sel:DWORD
	v_lshrrev_b32_e32 v58, 16, v26
	v_fma_f16 v18, v40, v50, -v18
	v_mul_f16_sdwa v40, v38, v53 dst_sel:DWORD dst_unused:UNUSED_PAD src0_sel:WORD_1 src1_sel:DWORD
	v_fmac_f16_e32 v39, v37, v23
	v_mul_f16_sdwa v23, v38, v25 dst_sel:DWORD dst_unused:UNUSED_PAD src0_sel:WORD_1 src1_sel:DWORD
	v_fma_f16 v20, v37, v52, -v20
	v_mul_f16_sdwa v37, v33, v56 dst_sel:DWORD dst_unused:UNUSED_PAD src0_sel:WORD_1 src1_sel:DWORD
	v_fmac_f16_e32 v40, v38, v25
	v_mul_f16_sdwa v25, v33, v24 dst_sel:DWORD dst_unused:UNUSED_PAD src0_sel:WORD_1 src1_sel:DWORD
	;; [unrolled: 4-line block ×3, first 2 shown]
	v_fma_f16 v25, v33, v56, -v25
	v_add_f16_e32 v33, v55, v59
	v_fmac_f16_e32 v38, v34, v26
	v_add_f16_e32 v26, v1, v55
	v_fma_f16 v24, v34, v58, -v24
	v_add_f16_e32 v34, v9, v3
	v_fma_f16 v1, -0.5, v33, v1
	v_sub_f16_e32 v33, v9, v3
	v_add_f16_e32 v9, v7, v9
	v_lshrrev_b32_e32 v27, 16, v2
	v_fmac_f16_e32 v7, -0.5, v34
	v_sub_f16_e32 v34, v55, v59
	v_fma_f16 v17, v42, v46, -v17
	v_fmamk_f16 v41, v33, 0xbaee, v1
	v_fmac_f16_e32 v1, 0x3aee, v33
	v_add_f16_e32 v3, v9, v3
	v_add_f16_e32 v9, v35, v15
	v_fmamk_f16 v33, v34, 0x3aee, v7
	v_add_f16_e32 v42, v2, v35
	v_fmac_f16_e32 v7, 0xbaee, v34
	v_add_f16_e32 v34, v5, v4
	v_fmac_f16_e32 v2, -0.5, v9
	v_sub_f16_e32 v9, v5, v4
	v_add_f16_e32 v42, v42, v15
	v_add_f16_e32 v5, v27, v5
	v_fmac_f16_e32 v27, -0.5, v34
	v_sub_f16_e32 v15, v35, v15
	v_lshrrev_b32_e32 v30, 16, v13
	v_fmamk_f16 v34, v9, 0xbaee, v2
	v_fmac_f16_e32 v2, 0x3aee, v9
	v_add_f16_e32 v4, v5, v4
	v_add_f16_e32 v5, v28, v29
	v_fmamk_f16 v9, v15, 0x3aee, v27
	v_fmac_f16_e32 v27, 0xbaee, v15
	v_add_f16_e32 v15, v6, v17
	v_add_f16_e32 v35, v13, v28
	v_fma_f16 v5, -0.5, v5, v13
	v_sub_f16_e32 v13, v6, v17
	v_add_f16_e32 v6, v30, v6
	v_fmac_f16_e32 v30, -0.5, v15
	v_sub_f16_e32 v15, v28, v29
	v_lshrrev_b32_e32 v48, 16, v14
	v_fmamk_f16 v28, v13, 0xbaee, v5
	v_fmac_f16_e32 v5, 0x3aee, v13
	v_add_f16_e32 v6, v6, v17
	v_add_f16_e32 v13, v32, v36
	v_fmamk_f16 v17, v15, 0x3aee, v30
	v_fmac_f16_e32 v30, 0xbaee, v15
	v_add_f16_e32 v15, v19, v18
	v_add_f16_e32 v35, v35, v29
	;; [unrolled: 1-line block ×3, first 2 shown]
	v_fmac_f16_e32 v14, -0.5, v13
	v_sub_f16_e32 v13, v19, v18
	v_add_f16_e32 v19, v48, v19
	v_fmac_f16_e32 v48, -0.5, v15
	v_sub_f16_e32 v15, v32, v36
	v_lshrrev_b32_e32 v51, 16, v21
	v_add_f16_e32 v29, v29, v36
	v_fmamk_f16 v32, v13, 0xbaee, v14
	v_fmac_f16_e32 v14, 0x3aee, v13
	v_add_f16_e32 v13, v19, v18
	v_add_f16_e32 v18, v39, v40
	v_fmamk_f16 v19, v15, 0x3aee, v48
	v_add_f16_e32 v36, v21, v39
	v_fmac_f16_e32 v48, 0xbaee, v15
	v_add_f16_e32 v15, v20, v23
	v_lshrrev_b32_e32 v54, 16, v22
	v_fma_f16 v18, -0.5, v18, v21
	v_sub_f16_e32 v21, v20, v23
	v_add_f16_e32 v36, v36, v40
	v_add_f16_e32 v20, v51, v20
	v_fmac_f16_e32 v51, -0.5, v15
	v_sub_f16_e32 v15, v39, v40
	v_add_f16_e32 v40, v37, v38
	v_add_f16_e32 v26, v26, v59
	v_fmamk_f16 v39, v21, 0xbaee, v18
	v_fmac_f16_e32 v18, 0x3aee, v21
	v_add_f16_e32 v20, v20, v23
	v_fmamk_f16 v21, v15, 0x3aee, v51
	v_add_f16_e32 v23, v22, v37
	v_fmac_f16_e32 v22, -0.5, v40
	v_sub_f16_e32 v40, v25, v24
	v_fmac_f16_e32 v51, 0xbaee, v15
	v_add_f16_e32 v15, v54, v25
	v_add_f16_e32 v25, v25, v24
	v_pack_b32_f16 v3, v26, v3
	v_pack_b32_f16 v4, v42, v4
	;; [unrolled: 1-line block ×4, first 2 shown]
	v_fmac_f16_e32 v54, -0.5, v25
	v_pack_b32_f16 v25, v41, v33
	v_pack_b32_f16 v2, v2, v27
	v_add_f16_e32 v15, v15, v24
	v_sub_f16_e32 v24, v37, v38
	ds_write2_b32 v83, v3, v4 offset1:66
	ds_write2_b32 v12, v25, v7 offset0:140 offset1:206
	ds_write2_b32 v0, v1, v2 offset0:24 offset1:90
	v_pack_b32_f16 v2, v28, v17
	v_pack_b32_f16 v3, v5, v30
	v_add_f16_e32 v23, v23, v38
	v_pack_b32_f16 v1, v35, v6
	v_pack_b32_f16 v4, v29, v13
	v_fmamk_f16 v43, v40, 0xbaee, v22
	v_fmamk_f16 v9, v24, 0x3aee, v54
	v_pack_b32_f16 v5, v32, v19
	v_fmac_f16_e32 v22, 0x3aee, v40
	v_fmac_f16_e32 v54, 0xbaee, v24
	v_pack_b32_f16 v6, v14, v48
	ds_write_b32 v47, v2 offset:1584
	ds_write_b32 v47, v3 offset:3168
	ds_write2_b32 v83, v1, v4 offset0:132 offset1:198
	ds_write_b32 v45, v5 offset:1584
	ds_write_b32 v45, v6 offset:3168
	v_pack_b32_f16 v2, v39, v21
	v_pack_b32_f16 v3, v18, v51
	;; [unrolled: 1-line block ×6, first 2 shown]
	ds_write_b32 v31, v2 offset:1584
	ds_write_b32 v31, v3 offset:3168
	ds_write2_b32 v12, v1, v4 offset0:8 offset1:74
	ds_write_b32 v8, v5 offset:1584
	ds_write_b32 v8, v6 offset:3168
	s_waitcnt lgkmcnt(0)
	s_barrier
	buffer_gl0_inv
	ds_read2_b32 v[6:7], v83 offset1:66
	s_waitcnt lgkmcnt(0)
	v_lshrrev_b32_e32 v3, 16, v6
	v_mul_f16_sdwa v4, v82, v6 dst_sel:DWORD dst_unused:UNUSED_PAD src0_sel:WORD_1 src1_sel:DWORD
	v_mul_f16_sdwa v1, v82, v3 dst_sel:DWORD dst_unused:UNUSED_PAD src0_sel:WORD_1 src1_sel:DWORD
	v_fma_f16 v3, v82, v3, -v4
	v_fmac_f16_e32 v1, v82, v6
	v_cvt_f32_f16_e32 v3, v3
	v_cvt_f32_f16_e32 v1, v1
	v_cvt_f64_f32_e32 v[3:4], v3
	v_cvt_f64_f32_e32 v[1:2], v1
	v_mul_f64 v[8:9], v[3:4], s[2:3]
	ds_read2_b32 v[4:5], v83 offset0:132 offset1:198
	v_mul_f64 v[1:2], v[1:2], s[2:3]
	s_waitcnt lgkmcnt(0)
	v_lshrrev_b32_e32 v15, 16, v5
	v_and_or_b32 v8, 0x1ff, v9, v8
	v_lshrrev_b32_e32 v17, 8, v9
	v_bfe_u32 v19, v9, 20, 11
	v_lshrrev_b32_e32 v9, 16, v9
	v_and_or_b32 v1, 0x1ff, v2, v1
	v_lshrrev_b32_e32 v3, 8, v2
	v_bfe_u32 v6, v2, 20, 11
	v_mul_f16_sdwa v18, v81, v15 dst_sel:DWORD dst_unused:UNUSED_PAD src0_sel:WORD_1 src1_sel:DWORD
	v_cmp_ne_u32_e32 vcc_lo, 0, v1
	v_add_nc_u32_e32 v20, 0xfffffc10, v6
	v_fmac_f16_e32 v18, v81, v5
	v_mul_f16_sdwa v5, v81, v5 dst_sel:DWORD dst_unused:UNUSED_PAD src0_sel:WORD_1 src1_sel:DWORD
	v_cndmask_b32_e64 v1, 0, 1, vcc_lo
	v_cmp_ne_u32_e32 vcc_lo, 0, v8
	v_fma_f16 v5, v81, v15, -v5
	v_and_or_b32 v1, 0xffe, v3, v1
	v_sub_nc_u32_e32 v3, 0x3f1, v6
	v_cndmask_b32_e64 v8, 0, 1, vcc_lo
	v_cvt_f32_f16_e32 v5, v5
	v_or_b32_e32 v13, 0x1000, v1
	v_med3_i32 v3, v3, 0, 13
	v_and_or_b32 v8, 0xffe, v17, v8
	v_sub_nc_u32_e32 v17, 0x3f1, v19
	v_lshrrev_b32_e32 v14, v3, v13
	v_or_b32_e32 v6, 0x1000, v8
	v_med3_i32 v17, v17, 0, 13
	v_lshlrev_b32_e32 v3, v3, v14
	v_lshrrev_b32_e32 v21, v17, v6
	v_cmp_ne_u32_e32 vcc_lo, v3, v13
	v_cvt_f32_f16_e32 v13, v18
	v_lshl_or_b32 v18, v20, 12, v1
	v_lshlrev_b32_e32 v22, v17, v21
	v_cndmask_b32_e64 v3, 0, 1, vcc_lo
	v_cmp_gt_i32_e32 vcc_lo, 1, v20
	v_or_b32_e32 v3, v14, v3
	v_cvt_f64_f32_e32 v[13:14], v13
	v_cndmask_b32_e32 v3, v18, v3, vcc_lo
	v_cmp_ne_u32_e32 vcc_lo, v22, v6
	v_add_nc_u32_e32 v22, 0xfffffc10, v19
	v_mad_u64_u32 v[17:18], null, s10, v16, 0
	v_and_b32_e32 v23, 7, v3
	v_cndmask_b32_e64 v6, 0, 1, vcc_lo
	v_lshl_or_b32 v15, v22, 12, v8
	v_lshrrev_b32_e32 v3, 2, v3
	v_cmp_gt_i32_e64 s1, 1, v22
	v_cmp_lt_i32_e32 vcc_lo, 5, v23
	v_cmp_eq_u32_e64 s0, 3, v23
	v_or_b32_e32 v6, v21, v6
	v_lshrrev_b32_e32 v23, 16, v2
	s_or_b32 vcc_lo, s0, vcc_lo
	v_cndmask_b32_e64 v19, v15, v6, s1
	v_cvt_f64_f32_e32 v[5:6], v5
	v_add_co_ci_u32_e32 v3, vcc_lo, 0, v3, vcc_lo
	v_cmp_ne_u32_e32 vcc_lo, 0, v1
	v_mul_f64 v[13:14], v[13:14], s[2:3]
	v_and_b32_e32 v21, 7, v19
	v_mov_b32_e32 v1, v18
	v_cmp_eq_u32_e64 s1, 0x40f, v20
	v_cndmask_b32_e64 v15, 0, 1, vcc_lo
	v_cmp_gt_i32_e32 vcc_lo, 31, v20
	v_cmp_eq_u32_e64 s0, 3, v21
	v_lshl_or_b32 v18, v15, 9, 0x7c00
	v_cndmask_b32_e32 v3, 0x7c00, v3, vcc_lo
	v_cmp_lt_i32_e32 vcc_lo, 5, v21
	v_mad_u64_u32 v[15:16], null, s11, v16, v[1:2]
	v_lshrrev_b32_e32 v1, 2, v19
	v_cndmask_b32_e64 v3, v3, v18, s1
	s_or_b32 vcc_lo, s0, vcc_lo
	v_mul_f64 v[19:20], v[5:6], s[2:3]
	v_add_co_ci_u32_e32 v1, vcc_lo, 0, v1, vcc_lo
	v_cmp_ne_u32_e32 vcc_lo, 0, v8
	v_and_or_b32 v13, 0x1ff, v14, v13
	ds_read2_b32 v[5:6], v12 offset0:140 offset1:206
	v_lshrrev_b32_e32 v16, 8, v14
	v_bfe_u32 v21, v14, 20, 11
	v_cndmask_b32_e64 v8, 0, 1, vcc_lo
	v_cmp_gt_i32_e32 vcc_lo, 31, v22
	v_mov_b32_e32 v18, v15
	v_and_or_b32 v15, 0x8000, v23, v3
	v_lshrrev_b32_e32 v14, 16, v14
	v_lshl_or_b32 v8, v8, 9, 0x7c00
	v_cndmask_b32_e32 v1, 0x7c00, v1, vcc_lo
	v_cmp_ne_u32_e32 vcc_lo, 0, v13
	v_and_b32_e32 v28, 0xffff, v15
	v_cndmask_b32_e64 v13, 0, 1, vcc_lo
	v_cmp_eq_u32_e32 vcc_lo, 0x40f, v22
	v_and_or_b32 v3, 0x1ff, v20, v19
	v_lshrrev_b32_e32 v19, 8, v20
	v_bfe_u32 v26, v20, 20, 11
	v_and_or_b32 v13, 0xffe, v16, v13
	v_sub_nc_u32_e32 v16, 0x3f1, v21
	v_cndmask_b32_e32 v8, v1, v8, vcc_lo
	s_waitcnt lgkmcnt(0)
	v_lshrrev_b32_e32 v24, 16, v5
	v_cmp_ne_u32_e32 vcc_lo, 0, v3
	v_or_b32_e32 v22, 0x1000, v13
	v_med3_i32 v16, v16, 0, 13
	v_and_or_b32 v23, 0x8000, v9, v8
	v_mul_f16_sdwa v8, v79, v24 dst_sel:DWORD dst_unused:UNUSED_PAD src0_sel:WORD_1 src1_sel:DWORD
	v_mad_u64_u32 v[1:2], null, s8, v80, 0
	v_lshrrev_b32_e32 v25, v16, v22
	v_add_nc_u32_e32 v21, 0xfffffc10, v21
	v_fmac_f16_e32 v8, v79, v5
	v_mul_f16_sdwa v5, v79, v5 dst_sel:DWORD dst_unused:UNUSED_PAD src0_sel:WORD_1 src1_sel:DWORD
	v_lshl_or_b32 v23, v23, 16, v28
	v_lshlrev_b32_e32 v9, v16, v25
	v_cndmask_b32_e64 v16, 0, 1, vcc_lo
	v_mad_u64_u32 v[2:3], null, s9, v80, v[2:3]
	v_cvt_f32_f16_e32 v3, v8
	v_cmp_ne_u32_e32 vcc_lo, v9, v22
	v_and_or_b32 v19, 0xffe, v19, v16
	v_sub_nc_u32_e32 v16, 0x3f1, v26
	v_add_nc_u32_e32 v26, 0xfffffc10, v26
	v_cvt_f64_f32_e32 v[8:9], v3
	v_cndmask_b32_e64 v22, 0, 1, vcc_lo
	v_or_b32_e32 v3, 0x1000, v19
	v_med3_i32 v27, v16, 0, 13
	v_lshlrev_b64 v[15:16], 2, v[17:18]
	v_cmp_gt_i32_e32 vcc_lo, 1, v21
	v_or_b32_e32 v22, v25, v22
	v_lshl_or_b32 v25, v21, 12, v13
	v_lshrrev_b32_e32 v29, v27, v3
	v_lshlrev_b64 v[1:2], 2, v[1:2]
	v_cmp_gt_i32_e64 s1, 1, v26
	v_cndmask_b32_e32 v17, v25, v22, vcc_lo
	v_lshlrev_b32_e32 v18, v27, v29
	v_add_co_u32 v22, vcc_lo, s4, v15
	v_add_co_ci_u32_e32 v25, vcc_lo, s5, v16, vcc_lo
	v_cmp_ne_u32_e32 vcc_lo, v18, v3
	v_and_b32_e32 v27, 7, v17
	s_mul_hi_u32 s4, s8, 0x318
	s_mul_i32 s5, s8, 0x318
	v_mul_f64 v[15:16], v[8:9], s[2:3]
	v_cndmask_b32_e64 v3, 0, 1, vcc_lo
	v_add_co_u32 v8, vcc_lo, v22, v1
	v_add_co_ci_u32_e32 v9, vcc_lo, v25, v2, vcc_lo
	v_or_b32_e32 v1, v29, v3
	v_lshl_or_b32 v2, v26, 12, v19
	v_fma_f16 v3, v79, v24, -v5
	v_cmp_lt_i32_e32 vcc_lo, 5, v27
	v_cmp_eq_u32_e64 s0, 3, v27
	v_lshrrev_b32_e32 v5, 2, v17
	v_cndmask_b32_e64 v1, v2, v1, s1
	v_cvt_f32_f16_e32 v2, v3
	global_store_dword v[8:9], v23, off
	s_or_b32 vcc_lo, s0, vcc_lo
	v_add_co_ci_u32_e32 v3, vcc_lo, 0, v5, vcc_lo
	v_cmp_ne_u32_e32 vcc_lo, 0, v13
	v_cvt_f64_f32_e32 v[17:18], v2
	v_and_b32_e32 v13, 7, v1
	v_and_or_b32 v15, 0x1ff, v16, v15
	v_lshrrev_b32_e32 v1, 2, v1
	v_cndmask_b32_e64 v5, 0, 1, vcc_lo
	v_cmp_gt_i32_e32 vcc_lo, 31, v21
	v_cmp_eq_u32_e64 s0, 3, v13
	v_cmp_ne_u32_e64 s1, 0, v15
	v_lshrrev_b32_e32 v15, 8, v16
	v_lshl_or_b32 v5, v5, 9, 0x7c00
	v_cndmask_b32_e32 v22, 0x7c00, v3, vcc_lo
	ds_read2_b32 v[2:3], v11 offset0:16 offset1:82
	v_cmp_lt_i32_e32 vcc_lo, 5, v13
	v_cndmask_b32_e64 v13, 0, 1, s1
	v_cmp_eq_u32_e64 s1, 0x40f, v21
	v_bfe_u32 v21, v16, 20, 11
	s_or_b32 vcc_lo, s0, vcc_lo
	v_and_or_b32 v15, 0xffe, v15, v13
	v_add_co_ci_u32_e32 v1, vcc_lo, 0, v1, vcc_lo
	v_sub_nc_u32_e32 v13, 0x3f1, v21
	v_mul_f64 v[17:18], v[17:18], s[2:3]
	v_cndmask_b32_e64 v5, v22, v5, s1
	v_cmp_ne_u32_e32 vcc_lo, 0, v19
	v_or_b32_e32 v22, 0x1000, v15
	v_med3_i32 v13, v13, 0, 13
	v_add_nc_u32_e32 v23, 0xfffffc10, v21
	v_and_or_b32 v5, 0x8000, v14, v5
	v_cndmask_b32_e64 v19, 0, 1, vcc_lo
	v_cmp_gt_i32_e32 vcc_lo, 31, v26
	s_waitcnt lgkmcnt(0)
	v_lshrrev_b32_e32 v24, 16, v3
	v_lshrrev_b32_e32 v25, v13, v22
	v_and_b32_e32 v5, 0xffff, v5
	v_lshl_or_b32 v19, v19, 9, 0x7c00
	v_cndmask_b32_e32 v1, 0x7c00, v1, vcc_lo
	v_mul_f16_sdwa v27, v78, v24 dst_sel:DWORD dst_unused:UNUSED_PAD src0_sel:WORD_1 src1_sel:DWORD
	v_cmp_eq_u32_e32 vcc_lo, 0x40f, v26
	v_lshlrev_b32_e32 v13, v13, v25
	s_mul_i32 s0, s9, 0x318
	v_fmac_f16_e32 v27, v78, v3
	v_cndmask_b32_e32 v1, v1, v19, vcc_lo
	v_lshrrev_b32_e32 v19, 16, v20
	v_cmp_ne_u32_e32 vcc_lo, v13, v22
	v_and_or_b32 v17, 0x1ff, v18, v17
	v_cvt_f32_f16_e32 v14, v27
	v_lshrrev_b32_e32 v20, 8, v18
	v_and_or_b32 v1, 0x8000, v19, v1
	v_cndmask_b32_e64 v19, 0, 1, vcc_lo
	v_cmp_ne_u32_e32 vcc_lo, 0, v17
	v_cvt_f64_f32_e32 v[13:14], v14
	v_bfe_u32 v21, v18, 20, 11
	v_lshl_or_b32 v1, v1, 16, v5
	v_or_b32_e32 v5, v25, v19
	v_lshl_or_b32 v19, v23, 12, v15
	v_cndmask_b32_e64 v17, 0, 1, vcc_lo
	v_cmp_gt_i32_e32 vcc_lo, 1, v23
	s_add_i32 s4, s4, s0
	v_mul_f16_sdwa v3, v78, v3 dst_sel:DWORD dst_unused:UNUSED_PAD src0_sel:WORD_1 src1_sel:DWORD
	v_lshrrev_b32_e32 v18, 16, v18
	v_and_or_b32 v17, 0xffe, v20, v17
	v_cndmask_b32_e32 v5, v19, v5, vcc_lo
	v_sub_nc_u32_e32 v19, 0x3f1, v21
	v_fma_f16 v3, v78, v24, -v3
	v_add_nc_u32_e32 v24, 0xfffffc10, v21
	v_or_b32_e32 v22, 0x1000, v17
	v_and_b32_e32 v20, 7, v5
	v_med3_i32 v25, v19, 0, 13
	v_lshrrev_b32_e32 v5, 2, v5
	v_add_co_u32 v19, s1, v8, s5
	v_cmp_lt_i32_e32 vcc_lo, 5, v20
	v_lshrrev_b32_e32 v26, v25, v22
	v_cmp_eq_u32_e64 s0, 3, v20
	v_mul_f64 v[13:14], v[13:14], s[2:3]
	v_add_co_ci_u32_e64 v20, s1, s4, v9, s1
	v_lshlrev_b32_e32 v8, v25, v26
	s_or_b32 vcc_lo, s0, vcc_lo
	v_cvt_f32_f16_e32 v3, v3
	v_add_co_ci_u32_e32 v5, vcc_lo, 0, v5, vcc_lo
	v_cmp_ne_u32_e32 vcc_lo, v8, v22
	global_store_dword v[19:20], v1, off
	v_cvt_f64_f32_e32 v[21:22], v3
	v_cmp_eq_u32_e64 s1, 0x40f, v23
	v_cndmask_b32_e64 v8, 0, 1, vcc_lo
	v_cmp_gt_i32_e32 vcc_lo, 31, v23
	v_or_b32_e32 v3, v26, v8
	v_cndmask_b32_e32 v1, 0x7c00, v5, vcc_lo
	v_cmp_ne_u32_e32 vcc_lo, 0, v15
	v_lshl_or_b32 v5, v24, 12, v17
	v_and_or_b32 v8, 0x1ff, v14, v13
	v_lshrrev_b32_e32 v15, 8, v14
	v_bfe_u32 v25, v14, 20, 11
	v_cndmask_b32_e64 v13, 0, 1, vcc_lo
	v_cmp_gt_i32_e32 vcc_lo, 1, v24
	v_lshl_or_b32 v13, v13, 9, 0x7c00
	v_cndmask_b32_e32 v3, v5, v3, vcc_lo
	v_cmp_ne_u32_e32 vcc_lo, 0, v8
	ds_read2_b32 v[8:9], v0 offset0:24 offset1:90
	v_mul_f64 v[21:22], v[21:22], s[2:3]
	v_cndmask_b32_e64 v1, v1, v13, s1
	v_and_b32_e32 v26, 7, v3
	v_cndmask_b32_e64 v5, 0, 1, vcc_lo
	v_lshrrev_b32_e32 v3, 2, v3
	v_lshrrev_b32_e32 v13, 16, v16
	v_cmp_lt_i32_e32 vcc_lo, 5, v26
	v_and_or_b32 v5, 0xffe, v15, v5
	v_sub_nc_u32_e32 v15, 0x3f1, v25
	v_cmp_eq_u32_e64 s0, 3, v26
	v_add_nc_u32_e32 v25, 0xfffffc10, v25
	v_and_or_b32 v1, 0x8000, v13, v1
	v_or_b32_e32 v26, 0x1000, v5
	v_med3_i32 v15, v15, 0, 13
	s_or_b32 vcc_lo, s0, vcc_lo
	v_add_co_ci_u32_e32 v3, vcc_lo, 0, v3, vcc_lo
	v_lshrrev_b32_e32 v16, v15, v26
	v_cmp_ne_u32_e32 vcc_lo, 0, v17
	s_waitcnt lgkmcnt(0)
	v_lshrrev_b32_e32 v23, 16, v8
	v_and_or_b32 v21, 0x1ff, v22, v21
	v_and_b32_e32 v1, 0xffff, v1
	v_lshlrev_b32_e32 v15, v15, v16
	v_cndmask_b32_e64 v17, 0, 1, vcc_lo
	v_cmp_gt_i32_e32 vcc_lo, 31, v24
	v_lshl_or_b32 v17, v17, 9, 0x7c00
	v_cndmask_b32_e32 v3, 0x7c00, v3, vcc_lo
	v_cmp_ne_u32_e32 vcc_lo, v15, v26
	v_mul_f16_sdwa v26, v77, v23 dst_sel:DWORD dst_unused:UNUSED_PAD src0_sel:WORD_1 src1_sel:DWORD
	v_cndmask_b32_e64 v15, 0, 1, vcc_lo
	v_cmp_eq_u32_e32 vcc_lo, 0x40f, v24
	v_fmac_f16_e32 v26, v77, v8
	v_lshrrev_b32_e32 v24, 8, v22
	v_mul_f16_sdwa v8, v77, v8 dst_sel:DWORD dst_unused:UNUSED_PAD src0_sel:WORD_1 src1_sel:DWORD
	v_or_b32_e32 v15, v16, v15
	v_cndmask_b32_e32 v3, v3, v17, vcc_lo
	v_cmp_ne_u32_e32 vcc_lo, 0, v21
	v_lshl_or_b32 v16, v25, 12, v5
	v_cvt_f32_f16_e32 v21, v26
	v_bfe_u32 v26, v22, 20, 11
	v_and_or_b32 v3, 0x8000, v18, v3
	v_cndmask_b32_e64 v17, 0, 1, vcc_lo
	v_cmp_gt_i32_e32 vcc_lo, 1, v25
	v_fma_f16 v8, v77, v23, -v8
	v_add_nc_u32_e32 v23, 0xfffffc10, v26
	v_lshl_or_b32 v3, v3, 16, v1
	v_lshrrev_b32_e32 v22, 16, v22
	v_cndmask_b32_e32 v27, v16, v15, vcc_lo
	v_cvt_f64_f32_e32 v[15:16], v21
	v_and_or_b32 v21, 0xffe, v24, v17
	v_sub_nc_u32_e32 v17, 0x3f1, v26
	v_cvt_f32_f16_e32 v8, v8
	v_and_b32_e32 v13, 7, v27
	v_lshrrev_b32_e32 v1, 2, v27
	v_or_b32_e32 v24, 0x1000, v21
	v_med3_i32 v17, v17, 0, 13
	v_cmp_lt_i32_e32 vcc_lo, 5, v13
	v_cmp_eq_u32_e64 s0, 3, v13
	v_lshrrev_b32_e32 v28, v17, v24
	s_or_b32 vcc_lo, s0, vcc_lo
	v_lshlrev_b32_e32 v13, v17, v28
	v_add_co_ci_u32_e32 v1, vcc_lo, 0, v1, vcc_lo
	v_cvt_f64_f32_e32 v[17:18], v8
	v_cmp_ne_u32_e32 vcc_lo, v13, v24
	v_mul_f64 v[15:16], v[15:16], s[2:3]
	v_cndmask_b32_e64 v13, 0, 1, vcc_lo
	v_cmp_ne_u32_e32 vcc_lo, 0, v5
	v_or_b32_e32 v8, v28, v13
	v_cndmask_b32_e64 v5, 0, 1, vcc_lo
	v_cmp_gt_i32_e32 vcc_lo, 31, v25
	v_lshl_or_b32 v13, v23, 12, v21
	v_lshl_or_b32 v5, v5, 9, 0x7c00
	v_cndmask_b32_e32 v24, 0x7c00, v1, vcc_lo
	v_cmp_gt_i32_e32 vcc_lo, 1, v23
	ds_read2_b32 v[0:1], v0 offset0:156 offset1:222
	v_cndmask_b32_e32 v8, v13, v8, vcc_lo
	v_add_co_u32 v19, vcc_lo, v19, s5
	v_add_co_ci_u32_e32 v20, vcc_lo, s4, v20, vcc_lo
	v_and_b32_e32 v13, 7, v8
	v_cmp_eq_u32_e32 vcc_lo, 0x40f, v25
	v_and_or_b32 v15, 0x1ff, v16, v15
	v_lshrrev_b32_e32 v8, 2, v8
	v_bfe_u32 v25, v16, 20, 11
	v_cmp_eq_u32_e64 s0, 3, v13
	v_cndmask_b32_e32 v5, v24, v5, vcc_lo
	v_lshrrev_b32_e32 v24, 16, v14
	v_cmp_lt_i32_e32 vcc_lo, 5, v13
	v_mul_f64 v[13:14], v[17:18], s[2:3]
	v_cmp_ne_u32_e64 s1, 0, v15
	v_lshrrev_b32_e32 v17, 8, v16
	s_waitcnt lgkmcnt(0)
	v_lshrrev_b32_e32 v26, 16, v1
	s_or_b32 vcc_lo, s0, vcc_lo
	v_and_or_b32 v5, 0x8000, v24, v5
	v_cndmask_b32_e64 v15, 0, 1, s1
	v_add_co_ci_u32_e32 v8, vcc_lo, 0, v8, vcc_lo
	v_cmp_ne_u32_e32 vcc_lo, 0, v21
	v_mul_f16_sdwa v18, v76, v26 dst_sel:DWORD dst_unused:UNUSED_PAD src0_sel:WORD_1 src1_sel:DWORD
	v_and_or_b32 v15, 0xffe, v17, v15
	v_sub_nc_u32_e32 v17, 0x3f1, v25
	v_add_nc_u32_e32 v25, 0xfffffc10, v25
	v_cndmask_b32_e64 v21, 0, 1, vcc_lo
	v_cmp_gt_i32_e32 vcc_lo, 31, v23
	v_or_b32_e32 v27, 0x1000, v15
	v_med3_i32 v17, v17, 0, 13
	v_fmac_f16_e32 v18, v76, v1
	v_lshl_or_b32 v21, v21, 9, 0x7c00
	v_cndmask_b32_e32 v8, 0x7c00, v8, vcc_lo
	v_cmp_eq_u32_e32 vcc_lo, 0x40f, v23
	v_lshrrev_b32_e32 v28, v17, v27
	v_and_or_b32 v13, 0x1ff, v14, v13
	v_cvt_f32_f16_e32 v18, v18
	v_lshrrev_b32_e32 v23, 8, v14
	v_cndmask_b32_e32 v8, v8, v21, vcc_lo
	v_lshlrev_b32_e32 v21, v17, v28
	v_cmp_ne_u32_e32 vcc_lo, 0, v13
	v_bfe_u32 v29, v14, 20, 11
	v_cvt_f64_f32_e32 v[17:18], v18
	v_and_or_b32 v8, 0x8000, v22, v8
	v_and_b32_e32 v5, 0xffff, v5
	v_cndmask_b32_e64 v13, 0, 1, vcc_lo
	v_cmp_ne_u32_e32 vcc_lo, v21, v27
	v_lshl_or_b32 v27, v25, 12, v15
	v_mul_f16_sdwa v1, v76, v1 dst_sel:DWORD dst_unused:UNUSED_PAD src0_sel:WORD_1 src1_sel:DWORD
	global_store_dword v[19:20], v3, off
	v_and_or_b32 v13, 0xffe, v23, v13
	v_cndmask_b32_e64 v21, 0, 1, vcc_lo
	v_sub_nc_u32_e32 v23, 0x3f1, v29
	v_cmp_gt_i32_e32 vcc_lo, 1, v25
	v_lshl_or_b32 v3, v8, 16, v5
	v_fma_f16 v1, v76, v26, -v1
	v_or_b32_e32 v21, v28, v21
	v_or_b32_e32 v28, 0x1000, v13
	v_med3_i32 v23, v23, 0, 13
	v_add_nc_u32_e32 v8, 0xfffffc10, v29
	v_cvt_f32_f16_e32 v1, v1
	v_cndmask_b32_e32 v21, v27, v21, vcc_lo
	v_lshrrev_b32_e32 v16, 16, v16
	v_lshrrev_b32_e32 v22, v23, v28
	v_mul_f64 v[17:18], v[17:18], s[2:3]
	v_lshrrev_b32_e32 v14, 16, v14
	v_and_b32_e32 v24, 7, v21
	v_lshlrev_b32_e32 v23, v23, v22
	v_cmp_lt_i32_e32 vcc_lo, 5, v24
	v_cmp_ne_u32_e64 s0, v23, v28
	v_lshrrev_b32_e32 v23, 2, v21
	v_cndmask_b32_e64 v5, 0, 1, s0
	v_cmp_eq_u32_e64 s0, 3, v24
	v_or_b32_e32 v5, v22, v5
	s_or_b32 vcc_lo, s0, vcc_lo
	v_cvt_f64_f32_e32 v[21:22], v1
	v_add_co_ci_u32_e32 v23, vcc_lo, 0, v23, vcc_lo
	v_cmp_ne_u32_e32 vcc_lo, 0, v15
	v_lshl_or_b32 v1, v8, 12, v13
	v_lshrrev_b32_e32 v24, 8, v18
	v_bfe_u32 v26, v18, 20, 11
	v_cndmask_b32_e64 v15, 0, 1, vcc_lo
	v_cmp_gt_i32_e32 vcc_lo, 1, v8
	v_lshl_or_b32 v15, v15, 9, 0x7c00
	v_cndmask_b32_e32 v1, v1, v5, vcc_lo
	v_and_or_b32 v5, 0x1ff, v18, v17
	v_cmp_gt_i32_e32 vcc_lo, 31, v25
	v_cndmask_b32_e32 v17, 0x7c00, v23, vcc_lo
	v_cmp_ne_u32_e32 vcc_lo, 0, v5
	v_and_b32_e32 v23, 7, v1
	v_mul_f64 v[21:22], v[21:22], s[2:3]
	v_lshrrev_b32_e32 v1, 2, v1
	v_cndmask_b32_e64 v5, 0, 1, vcc_lo
	v_cmp_eq_u32_e32 vcc_lo, 0x40f, v25
	v_cmp_eq_u32_e64 s0, 3, v23
	v_lshrrev_b32_e32 v25, 16, v7
	v_and_or_b32 v5, 0xffe, v24, v5
	v_cndmask_b32_e32 v15, v17, v15, vcc_lo
	v_cmp_lt_i32_e32 vcc_lo, 5, v23
	v_sub_nc_u32_e32 v17, 0x3f1, v26
	v_or_b32_e32 v23, 0x1000, v5
	v_and_or_b32 v27, 0x8000, v16, v15
	s_or_b32 vcc_lo, s0, vcc_lo
	v_med3_i32 v17, v17, 0, 13
	v_add_co_ci_u32_e32 v1, vcc_lo, 0, v1, vcc_lo
	v_cmp_ne_u32_e32 vcc_lo, 0, v13
	v_mul_f16_sdwa v15, v75, v25 dst_sel:DWORD dst_unused:UNUSED_PAD src0_sel:WORD_1 src1_sel:DWORD
	v_lshrrev_b32_e32 v24, v17, v23
	v_and_b32_e32 v27, 0xffff, v27
	v_cndmask_b32_e64 v13, 0, 1, vcc_lo
	v_cmp_gt_i32_e32 vcc_lo, 31, v8
	v_lshlrev_b32_e32 v16, v17, v24
	v_fmac_f16_e32 v15, v75, v7
	v_add_nc_u32_e32 v17, 0xfffffc10, v26
	v_lshl_or_b32 v13, v13, 9, 0x7c00
	v_cndmask_b32_e32 v1, 0x7c00, v1, vcc_lo
	v_cmp_eq_u32_e32 vcc_lo, 0x40f, v8
	v_and_or_b32 v8, 0x1ff, v22, v21
	v_cvt_f32_f16_e32 v15, v15
	v_lshrrev_b32_e32 v21, 8, v22
	v_mul_f16_sdwa v7, v75, v7 dst_sel:DWORD dst_unused:UNUSED_PAD src0_sel:WORD_1 src1_sel:DWORD
	v_cndmask_b32_e32 v1, v1, v13, vcc_lo
	v_cmp_ne_u32_e32 vcc_lo, v16, v23
	v_cvt_f64_f32_e32 v[15:16], v15
	v_bfe_u32 v23, v22, 20, 11
	v_fma_f16 v7, v75, v25, -v7
	v_and_or_b32 v1, 0x8000, v14, v1
	v_cndmask_b32_e64 v13, 0, 1, vcc_lo
	v_cmp_ne_u32_e32 vcc_lo, 0, v8
	v_add_nc_u32_e32 v25, 0xfffffc10, v23
	v_cvt_f32_f16_e32 v7, v7
	v_lshl_or_b32 v1, v1, 16, v27
	v_or_b32_e32 v13, v24, v13
	v_cndmask_b32_e64 v8, 0, 1, vcc_lo
	v_lshl_or_b32 v24, v17, 12, v5
	v_cmp_gt_i32_e32 vcc_lo, 1, v17
	v_lshrrev_b32_e32 v22, 16, v22
	v_and_or_b32 v21, 0xffe, v21, v8
	v_sub_nc_u32_e32 v8, 0x3f1, v23
	v_cndmask_b32_e32 v26, v24, v13, vcc_lo
	v_add_co_u32 v13, vcc_lo, v19, s5
	v_or_b32_e32 v24, 0x1000, v21
	v_med3_i32 v8, v8, 0, 13
	v_and_b32_e32 v28, 7, v26
	v_mul_f64 v[15:16], v[15:16], s[2:3]
	v_add_co_ci_u32_e32 v14, vcc_lo, s4, v20, vcc_lo
	v_lshrrev_b32_e32 v29, v8, v24
	v_cmp_lt_i32_e32 vcc_lo, 5, v28
	v_cmp_eq_u32_e64 s0, 3, v28
	v_cvt_f64_f32_e32 v[19:20], v7
	v_lshrrev_b32_e32 v7, 2, v26
	v_lshlrev_b32_e32 v8, v8, v29
	v_lshl_or_b32 v26, v25, 12, v21
	s_or_b32 vcc_lo, s0, vcc_lo
	v_add_co_ci_u32_e32 v7, vcc_lo, 0, v7, vcc_lo
	v_cmp_ne_u32_e64 s1, v8, v24
	v_cmp_ne_u32_e32 vcc_lo, 0, v5
	v_cndmask_b32_e64 v8, 0, 1, s1
	v_cndmask_b32_e64 v5, 0, 1, vcc_lo
	v_cmp_gt_i32_e32 vcc_lo, 1, v25
	v_and_or_b32 v15, 0x1ff, v16, v15
	v_lshrrev_b32_e32 v28, 8, v16
	v_or_b32_e32 v8, v29, v8
	v_lshl_or_b32 v5, v5, 9, 0x7c00
	v_bfe_u32 v29, v16, 20, 11
	v_add_co_u32 v23, s1, v13, s5
	v_cndmask_b32_e32 v26, v26, v8, vcc_lo
	v_cmp_gt_i32_e32 vcc_lo, 31, v17
	v_mul_f64 v[19:20], v[19:20], s[2:3]
	v_add_co_ci_u32_e64 v24, s1, s4, v14, s1
	v_lshrrev_b32_e32 v16, 16, v16
	v_cndmask_b32_e32 v27, 0x7c00, v7, vcc_lo
	ds_read2_b32 v[7:8], v12 offset0:8 offset1:74
	v_cmp_ne_u32_e32 vcc_lo, 0, v15
	v_and_b32_e32 v12, 7, v26
	global_store_dword v[13:14], v3, off
	global_store_dword v[23:24], v1, off
	v_cndmask_b32_e64 v15, 0, 1, vcc_lo
	v_cmp_eq_u32_e32 vcc_lo, 0x40f, v17
	v_cmp_eq_u32_e64 s0, 3, v12
	v_lshrrev_b32_e32 v17, 2, v26
	v_cndmask_b32_e32 v5, v27, v5, vcc_lo
	v_cmp_lt_i32_e32 vcc_lo, 5, v12
	v_and_or_b32 v27, 0xffe, v28, v15
	v_sub_nc_u32_e32 v15, 0x3f1, v29
	v_lshrrev_b32_e32 v12, 16, v18
	v_and_or_b32 v19, 0x1ff, v20, v19
	s_or_b32 vcc_lo, s0, vcc_lo
	v_or_b32_e32 v26, 0x1000, v27
	v_add_co_ci_u32_e32 v17, vcc_lo, 0, v17, vcc_lo
	s_waitcnt lgkmcnt(0)
	v_lshrrev_b32_e32 v28, 16, v7
	v_cmp_ne_u32_e32 vcc_lo, 0, v21
	v_med3_i32 v15, v15, 0, 13
	v_lshrrev_b32_e32 v31, 8, v20
	v_bfe_u32 v32, v20, 20, 11
	v_mul_f16_sdwa v30, v74, v28 dst_sel:DWORD dst_unused:UNUSED_PAD src0_sel:WORD_1 src1_sel:DWORD
	v_cndmask_b32_e64 v18, 0, 1, vcc_lo
	v_cmp_gt_i32_e32 vcc_lo, 31, v25
	v_lshrrev_b32_e32 v21, v15, v26
	v_and_or_b32 v5, 0x8000, v12, v5
	v_fmac_f16_e32 v30, v74, v7
	v_lshl_or_b32 v18, v18, 9, 0x7c00
	v_cndmask_b32_e32 v17, 0x7c00, v17, vcc_lo
	v_cmp_ne_u32_e32 vcc_lo, 0, v19
	v_lshlrev_b32_e32 v15, v15, v21
	v_cvt_f32_f16_e32 v30, v30
	v_and_b32_e32 v5, 0xffff, v5
	v_mul_f16_sdwa v7, v74, v7 dst_sel:DWORD dst_unused:UNUSED_PAD src0_sel:WORD_1 src1_sel:DWORD
	v_cndmask_b32_e64 v19, 0, 1, vcc_lo
	v_cmp_eq_u32_e32 vcc_lo, 0x40f, v25
	v_fma_f16 v7, v74, v28, -v7
	v_and_or_b32 v19, 0xffe, v31, v19
	v_cndmask_b32_e32 v25, v17, v18, vcc_lo
	v_cvt_f64_f32_e32 v[17:18], v30
	v_sub_nc_u32_e32 v31, 0x3f1, v32
	v_cmp_ne_u32_e32 vcc_lo, v15, v26
	v_add_nc_u32_e32 v26, 0xfffffc10, v29
	v_or_b32_e32 v29, 0x1000, v19
	v_and_or_b32 v22, 0x8000, v22, v25
	v_med3_i32 v30, v31, 0, 13
	v_cndmask_b32_e64 v15, 0, 1, vcc_lo
	v_cmp_gt_i32_e32 vcc_lo, 1, v26
	v_cvt_f32_f16_e32 v7, v7
	v_lshl_or_b32 v1, v22, 16, v5
	v_add_nc_u32_e32 v22, 0xfffffc10, v32
	v_or_b32_e32 v12, v21, v15
	v_lshl_or_b32 v15, v26, 12, v27
	v_lshrrev_b32_e32 v21, v30, v29
	v_cmp_gt_i32_e64 s1, 1, v22
	v_cndmask_b32_e32 v25, v15, v12, vcc_lo
	v_lshlrev_b32_e32 v12, v30, v21
	v_and_b32_e32 v3, 7, v25
	v_cmp_ne_u32_e32 vcc_lo, v12, v29
	v_mul_f64 v[12:13], v[17:18], s[2:3]
	v_lshl_or_b32 v17, v22, 12, v19
	v_cmp_eq_u32_e64 s0, 3, v3
	v_cndmask_b32_e64 v5, 0, 1, vcc_lo
	v_add_co_u32 v14, vcc_lo, v23, s5
	v_add_co_ci_u32_e32 v15, vcc_lo, s4, v24, vcc_lo
	v_or_b32_e32 v5, v21, v5
	v_cmp_lt_i32_e32 vcc_lo, 5, v3
	v_lshrrev_b32_e32 v3, 2, v25
	v_lshrrev_b32_e32 v24, 16, v6
	global_store_dword v[14:15], v1, off
	v_cndmask_b32_e64 v5, v17, v5, s1
	v_cvt_f64_f32_e32 v[17:18], v7
	s_or_b32 vcc_lo, s0, vcc_lo
	v_mul_f16_sdwa v25, v73, v24 dst_sel:DWORD dst_unused:UNUSED_PAD src0_sel:WORD_1 src1_sel:DWORD
	v_add_co_ci_u32_e32 v3, vcc_lo, 0, v3, vcc_lo
	v_cmp_ne_u32_e32 vcc_lo, 0, v27
	v_and_b32_e32 v23, 7, v5
	v_and_or_b32 v7, 0x1ff, v13, v12
	v_lshrrev_b32_e32 v5, 2, v5
	v_fmac_f16_e32 v25, v73, v6
	v_cndmask_b32_e64 v21, 0, 1, vcc_lo
	v_cmp_gt_i32_e32 vcc_lo, 31, v26
	v_cmp_ne_u32_e64 s1, 0, v7
	v_cmp_eq_u32_e64 s0, 3, v23
	v_mad_u64_u32 v[14:15], null, 0xfffff190, s8, v[14:15]
	v_cndmask_b32_e32 v3, 0x7c00, v3, vcc_lo
	v_lshl_or_b32 v12, v21, 9, 0x7c00
	v_cndmask_b32_e64 v7, 0, 1, s1
	v_cmp_eq_u32_e64 s1, 0x40f, v26
	v_cmp_lt_i32_e32 vcc_lo, 5, v23
	v_lshrrev_b32_e32 v21, 8, v13
	v_mul_f64 v[17:18], v[17:18], s[2:3]
	v_cndmask_b32_e64 v3, v3, v12, s1
	v_bfe_u32 v12, v13, 20, 11
	s_or_b32 vcc_lo, s0, vcc_lo
	v_and_or_b32 v7, 0xffe, v21, v7
	v_add_co_ci_u32_e32 v5, vcc_lo, 0, v5, vcc_lo
	v_sub_nc_u32_e32 v21, 0x3f1, v12
	v_cmp_ne_u32_e32 vcc_lo, 0, v19
	v_or_b32_e32 v23, 0x1000, v7
	v_and_or_b32 v1, 0x8000, v16, v3
	v_cvt_f32_f16_e32 v3, v25
	v_med3_i32 v21, v21, 0, 13
	v_cndmask_b32_e64 v19, 0, 1, vcc_lo
	v_cmp_gt_i32_e32 vcc_lo, 31, v22
	v_and_b32_e32 v1, 0xffff, v1
	s_mul_i32 s0, s9, 0xfffff190
	v_lshrrev_b32_e32 v26, v21, v23
	v_lshl_or_b32 v19, v19, 9, 0x7c00
	v_cndmask_b32_e32 v5, 0x7c00, v5, vcc_lo
	v_cmp_eq_u32_e32 vcc_lo, 0x40f, v22
	v_bfe_u32 v22, v18, 20, 11
	s_sub_i32 s6, s0, s8
	v_lshrrev_b32_e32 v13, 16, v13
	v_add_nc_u32_e32 v15, s6, v15
	v_cndmask_b32_e32 v5, v5, v19, vcc_lo
	v_lshrrev_b32_e32 v19, 16, v20
	v_lshlrev_b32_e32 v20, v21, v26
	v_add_nc_u32_e32 v21, 0xfffffc10, v12
	v_and_or_b32 v5, 0x8000, v19, v5
	v_cmp_ne_u32_e32 vcc_lo, v20, v23
	v_cvt_f64_f32_e32 v[19:20], v3
	v_and_or_b32 v3, 0x1ff, v18, v17
	v_lshrrev_b32_e32 v17, 8, v18
	v_lshl_or_b32 v1, v5, 16, v1
	v_cndmask_b32_e64 v16, 0, 1, vcc_lo
	v_mul_f16_sdwa v5, v73, v6 dst_sel:DWORD dst_unused:UNUSED_PAD src0_sel:WORD_1 src1_sel:DWORD
	v_cmp_ne_u32_e32 vcc_lo, 0, v3
	v_lshrrev_b32_e32 v18, 16, v18
	global_store_dword v[14:15], v1, off
	v_or_b32_e32 v12, v26, v16
	v_lshl_or_b32 v16, v21, 12, v7
	v_cndmask_b32_e64 v3, 0, 1, vcc_lo
	v_cmp_gt_i32_e32 vcc_lo, 1, v21
	v_fma_f16 v5, v73, v24, -v5
	v_and_or_b32 v3, 0xffe, v17, v3
	v_cndmask_b32_e32 v12, v16, v12, vcc_lo
	v_sub_nc_u32_e32 v16, 0x3f1, v22
	v_add_nc_u32_e32 v22, 0xfffffc10, v22
	v_or_b32_e32 v25, 0x1000, v3
	v_and_b32_e32 v23, 7, v12
	v_med3_i32 v26, v16, 0, 13
	v_mul_f64 v[16:17], v[19:20], s[2:3]
	v_lshrrev_b32_e32 v1, 2, v12
	v_cvt_f32_f16_e32 v12, v5
	v_cmp_lt_i32_e32 vcc_lo, 5, v23
	v_lshrrev_b32_e32 v19, v26, v25
	v_cmp_eq_u32_e64 s0, 3, v23
	v_lshlrev_b32_e32 v6, v26, v19
	s_or_b32 vcc_lo, s0, vcc_lo
	v_add_co_ci_u32_e32 v1, vcc_lo, 0, v1, vcc_lo
	v_cmp_ne_u32_e32 vcc_lo, v6, v25
	ds_read2_b32 v[5:6], v11 offset0:148 offset1:214
	v_cvt_f64_f32_e32 v[11:12], v12
	v_cndmask_b32_e64 v20, 0, 1, vcc_lo
	v_cmp_ne_u32_e32 vcc_lo, 0, v7
	v_and_or_b32 v16, 0x1ff, v17, v16
	v_bfe_u32 v23, v17, 20, 11
	v_or_b32_e32 v19, v19, v20
	v_cndmask_b32_e64 v7, 0, 1, vcc_lo
	v_cmp_gt_i32_e32 vcc_lo, 31, v21
	v_lshl_or_b32 v20, v22, 12, v3
	v_lshl_or_b32 v7, v7, 9, 0x7c00
	v_cndmask_b32_e32 v1, 0x7c00, v1, vcc_lo
	v_cmp_gt_i32_e32 vcc_lo, 1, v22
	s_waitcnt lgkmcnt(0)
	v_lshrrev_b32_e32 v24, 16, v5
	v_cndmask_b32_e32 v19, v20, v19, vcc_lo
	v_cmp_ne_u32_e32 vcc_lo, 0, v16
	v_lshrrev_b32_e32 v20, 8, v17
	v_mul_f64 v[11:12], v[11:12], s[2:3]
	v_lshrrev_b32_e32 v17, 16, v17
	v_cndmask_b32_e64 v16, 0, 1, vcc_lo
	v_cmp_eq_u32_e32 vcc_lo, 0x40f, v21
	v_and_or_b32 v21, 0xffe, v20, v16
	v_cndmask_b32_e32 v1, v1, v7, vcc_lo
	v_and_b32_e32 v7, 7, v19
	v_sub_nc_u32_e32 v16, 0x3f1, v23
	v_mul_f16_sdwa v20, v72, v24 dst_sel:DWORD dst_unused:UNUSED_PAD src0_sel:WORD_1 src1_sel:DWORD
	v_or_b32_e32 v25, 0x1000, v21
	v_and_or_b32 v1, 0x8000, v13, v1
	v_cmp_lt_i32_e32 vcc_lo, 5, v7
	v_cmp_eq_u32_e64 s0, 3, v7
	v_lshrrev_b32_e32 v7, 2, v19
	v_med3_i32 v16, v16, 0, 13
	v_fmac_f16_e32 v20, v72, v5
	v_add_nc_u32_e32 v23, 0xfffffc10, v23
	s_or_b32 vcc_lo, s0, vcc_lo
	v_and_or_b32 v11, 0x1ff, v12, v11
	v_add_co_ci_u32_e32 v7, vcc_lo, 0, v7, vcc_lo
	v_lshrrev_b32_e32 v13, v16, v25
	v_cmp_ne_u32_e32 vcc_lo, 0, v3
	v_cvt_f32_f16_e32 v19, v20
	v_and_b32_e32 v1, 0xffff, v1
	v_mul_f16_sdwa v5, v72, v5 dst_sel:DWORD dst_unused:UNUSED_PAD src0_sel:WORD_1 src1_sel:DWORD
	v_lshlrev_b32_e32 v16, v16, v13
	v_cndmask_b32_e64 v3, 0, 1, vcc_lo
	v_cmp_gt_i32_e32 vcc_lo, 31, v22
	v_cvt_f64_f32_e32 v[19:20], v19
	v_fma_f16 v5, v72, v24, -v5
	v_lshl_or_b32 v3, v3, 9, 0x7c00
	v_cndmask_b32_e32 v7, 0x7c00, v7, vcc_lo
	v_cmp_ne_u32_e32 vcc_lo, v16, v25
	v_cvt_f32_f16_e32 v5, v5
	v_cndmask_b32_e64 v16, 0, 1, vcc_lo
	v_cmp_eq_u32_e32 vcc_lo, 0x40f, v22
	v_bfe_u32 v22, v12, 20, 11
	v_cndmask_b32_e32 v3, v7, v3, vcc_lo
	v_cmp_ne_u32_e32 vcc_lo, 0, v11
	v_or_b32_e32 v7, v13, v16
	v_lshl_or_b32 v13, v23, 12, v21
	v_lshrrev_b32_e32 v16, 8, v12
	v_and_or_b32 v3, 0x8000, v18, v3
	v_cndmask_b32_e64 v11, 0, 1, vcc_lo
	v_cmp_gt_i32_e32 vcc_lo, 1, v23
	v_mul_f64 v[18:19], v[19:20], s[2:3]
	v_lshl_or_b32 v1, v3, 16, v1
	v_and_or_b32 v11, 0xffe, v16, v11
	v_cndmask_b32_e32 v7, v13, v7, vcc_lo
	v_sub_nc_u32_e32 v13, 0x3f1, v22
	v_or_b32_e32 v25, 0x1000, v11
	v_and_b32_e32 v16, 7, v7
	v_med3_i32 v20, v13, 0, 13
	v_add_co_u32 v13, s1, v14, s5
	v_lshrrev_b32_e32 v7, 2, v7
	v_cmp_lt_i32_e32 vcc_lo, 5, v16
	v_lshrrev_b32_e32 v3, v20, v25
	v_cmp_eq_u32_e64 s0, 3, v16
	v_add_co_ci_u32_e64 v14, s1, s4, v15, s1
	v_lshlrev_b32_e32 v15, v20, v3
	s_or_b32 vcc_lo, s0, vcc_lo
	v_and_or_b32 v18, 0x1ff, v19, v18
	v_add_co_ci_u32_e32 v7, vcc_lo, 0, v7, vcc_lo
	v_cmp_ne_u32_e32 vcc_lo, v15, v25
	v_cvt_f64_f32_e32 v[15:16], v5
	v_add_nc_u32_e32 v5, 0xfffffc10, v22
	v_lshrrev_b32_e32 v22, 8, v19
	v_bfe_u32 v24, v19, 20, 11
	v_cndmask_b32_e64 v20, 0, 1, vcc_lo
	v_cmp_gt_i32_e32 vcc_lo, 31, v23
	global_store_dword v[13:14], v1, off
	v_or_b32_e32 v3, v3, v20
	v_cndmask_b32_e32 v7, 0x7c00, v7, vcc_lo
	v_cmp_ne_u32_e32 vcc_lo, 0, v18
	v_lshl_or_b32 v20, v5, 12, v11
	v_cndmask_b32_e64 v18, 0, 1, vcc_lo
	v_cmp_ne_u32_e32 vcc_lo, 0, v21
	v_cndmask_b32_e64 v21, 0, 1, vcc_lo
	v_cmp_gt_i32_e32 vcc_lo, 1, v5
	v_mul_f64 v[15:16], v[15:16], s[2:3]
	v_lshl_or_b32 v21, v21, 9, 0x7c00
	v_cndmask_b32_e32 v3, v20, v3, vcc_lo
	v_and_or_b32 v20, 0xffe, v22, v18
	v_sub_nc_u32_e32 v18, 0x3f1, v24
	v_cmp_eq_u32_e32 vcc_lo, 0x40f, v23
	v_lshrrev_b32_e32 v22, 16, v9
	v_and_b32_e32 v25, 7, v3
	v_or_b32_e32 v26, 0x1000, v20
	v_med3_i32 v18, v18, 0, 13
	v_cndmask_b32_e32 v7, v7, v21, vcc_lo
	v_mul_f16_sdwa v27, v71, v22 dst_sel:DWORD dst_unused:UNUSED_PAD src0_sel:WORD_1 src1_sel:DWORD
	v_cmp_lt_i32_e32 vcc_lo, 5, v25
	v_cmp_eq_u32_e64 s0, 3, v25
	v_lshrrev_b32_e32 v3, 2, v3
	v_lshrrev_b32_e32 v21, v18, v26
	v_fmac_f16_e32 v27, v71, v9
	v_and_or_b32 v7, 0x8000, v17, v7
	s_or_b32 vcc_lo, s0, vcc_lo
	v_add_nc_u32_e32 v24, 0xfffffc10, v24
	v_add_co_ci_u32_e32 v3, vcc_lo, 0, v3, vcc_lo
	v_lshlrev_b32_e32 v23, v18, v21
	v_cmp_ne_u32_e32 vcc_lo, 0, v11
	v_cvt_f32_f16_e32 v17, v27
	v_and_or_b32 v15, 0x1ff, v16, v15
	v_lshrrev_b32_e32 v25, 8, v16
	v_mul_f16_sdwa v9, v71, v9 dst_sel:DWORD dst_unused:UNUSED_PAD src0_sel:WORD_1 src1_sel:DWORD
	v_cndmask_b32_e64 v11, 0, 1, vcc_lo
	v_cmp_ne_u32_e32 vcc_lo, v23, v26
	v_cvt_f64_f32_e32 v[17:18], v17
	v_and_b32_e32 v7, 0xffff, v7
	v_fma_f16 v9, v71, v22, -v9
	v_lshl_or_b32 v11, v11, 9, 0x7c00
	v_cndmask_b32_e64 v23, 0, 1, vcc_lo
	v_cmp_gt_i32_e32 vcc_lo, 31, v5
	v_cvt_f32_f16_e32 v9, v9
	v_or_b32_e32 v21, v21, v23
	v_cndmask_b32_e32 v3, 0x7c00, v3, vcc_lo
	v_cmp_ne_u32_e32 vcc_lo, 0, v15
	v_lshl_or_b32 v23, v24, 12, v20
	v_cndmask_b32_e64 v15, 0, 1, vcc_lo
	v_cmp_eq_u32_e32 vcc_lo, 0x40f, v5
	v_bfe_u32 v5, v16, 20, 11
	v_and_or_b32 v15, 0xffe, v25, v15
	v_cndmask_b32_e32 v3, v3, v11, vcc_lo
	v_cmp_gt_i32_e32 vcc_lo, 1, v24
	v_sub_nc_u32_e32 v25, 0x3f1, v5
	v_add_nc_u32_e32 v5, 0xfffffc10, v5
	v_or_b32_e32 v26, 0x1000, v15
	v_cndmask_b32_e32 v21, v23, v21, vcc_lo
	v_lshrrev_b32_e32 v23, 16, v12
	v_mul_f64 v[11:12], v[17:18], s[2:3]
	v_med3_i32 v18, v25, 0, 13
	v_and_b32_e32 v17, 7, v21
	v_and_or_b32 v3, 0x8000, v23, v3
	v_lshrrev_b32_e32 v22, v18, v26
	v_cmp_lt_i32_e32 vcc_lo, 5, v17
	v_cmp_eq_u32_e64 s0, 3, v17
	v_lshl_or_b32 v3, v3, 16, v7
	v_lshrrev_b32_e32 v7, 2, v21
	v_lshlrev_b32_e32 v21, v18, v22
	v_cvt_f64_f32_e32 v[17:18], v9
	s_or_b32 vcc_lo, s0, vcc_lo
	v_add_co_ci_u32_e32 v7, vcc_lo, 0, v7, vcc_lo
	v_cmp_ne_u32_e32 vcc_lo, v21, v26
	v_lshl_or_b32 v21, v5, 12, v15
	v_and_or_b32 v11, 0x1ff, v12, v11
	v_cndmask_b32_e64 v9, 0, 1, vcc_lo
	v_cmp_ne_u32_e32 vcc_lo, 0, v20
	v_bfe_u32 v23, v12, 20, 11
	v_or_b32_e32 v9, v22, v9
	v_cndmask_b32_e64 v20, 0, 1, vcc_lo
	v_cmp_ne_u32_e32 vcc_lo, 0, v11
	v_lshrrev_b32_e32 v22, 8, v12
	v_lshl_or_b32 v20, v20, 9, 0x7c00
	v_cndmask_b32_e64 v11, 0, 1, vcc_lo
	v_cmp_gt_i32_e32 vcc_lo, 1, v5
	v_mul_f64 v[17:18], v[17:18], s[2:3]
	v_and_or_b32 v11, 0xffe, v22, v11
	v_cndmask_b32_e32 v21, v21, v9, vcc_lo
	v_cmp_gt_i32_e32 vcc_lo, 31, v24
	v_sub_nc_u32_e32 v22, 0x3f1, v23
	ds_read2_b32 v[9:10], v10 offset0:32 offset1:98
	v_or_b32_e32 v26, 0x1000, v11
	v_and_b32_e32 v25, 7, v21
	v_cndmask_b32_e32 v7, 0x7c00, v7, vcc_lo
	v_med3_i32 v22, v22, 0, 13
	v_cmp_eq_u32_e32 vcc_lo, 0x40f, v24
	v_lshrrev_b32_e32 v24, 16, v19
	v_cmp_eq_u32_e64 s0, 3, v25
	v_lshrrev_b32_e32 v21, 2, v21
	v_add_nc_u32_e32 v23, 0xfffffc10, v23
	v_cndmask_b32_e32 v7, v7, v20, vcc_lo
	v_cmp_lt_i32_e32 vcc_lo, 5, v25
	v_lshrrev_b32_e32 v25, v22, v26
	v_add_co_u32 v19, s1, v13, s5
	v_and_or_b32 v7, 0x8000, v24, v7
	s_or_b32 vcc_lo, s0, vcc_lo
	v_lshlrev_b32_e32 v22, v22, v25
	v_add_co_ci_u32_e32 v24, vcc_lo, 0, v21, vcc_lo
	s_waitcnt lgkmcnt(0)
	v_lshrrev_b32_e32 v27, 16, v9
	v_and_or_b32 v17, 0x1ff, v18, v17
	v_cmp_ne_u32_e32 vcc_lo, v22, v26
	v_lshrrev_b32_e32 v26, 8, v18
	v_bfe_u32 v28, v18, 20, 11
	v_mul_f16_sdwa v22, v70, v27 dst_sel:DWORD dst_unused:UNUSED_PAD src0_sel:WORD_1 src1_sel:DWORD
	v_and_b32_e32 v7, 0xffff, v7
	v_cndmask_b32_e64 v21, 0, 1, vcc_lo
	v_cmp_ne_u32_e32 vcc_lo, 0, v15
	v_add_co_ci_u32_e64 v20, s1, s4, v14, s1
	v_fmac_f16_e32 v22, v70, v9
	v_or_b32_e32 v21, v25, v21
	v_cndmask_b32_e64 v15, 0, 1, vcc_lo
	v_cmp_ne_u32_e32 vcc_lo, 0, v17
	v_lshl_or_b32 v25, v23, 12, v11
	v_cvt_f32_f16_e32 v22, v22
	v_mul_f16_sdwa v9, v70, v9 dst_sel:DWORD dst_unused:UNUSED_PAD src0_sel:WORD_1 src1_sel:DWORD
	v_lshl_or_b32 v15, v15, 9, 0x7c00
	v_cndmask_b32_e64 v17, 0, 1, vcc_lo
	v_cmp_gt_i32_e32 vcc_lo, 1, v23
	global_store_dword v[19:20], v3, off
	v_fma_f16 v9, v70, v27, -v9
	v_add_nc_u32_e32 v27, 0xfffffc10, v28
	v_and_or_b32 v17, 0xffe, v26, v17
	v_cndmask_b32_e32 v25, v25, v21, vcc_lo
	v_cmp_gt_i32_e32 vcc_lo, 31, v5
	v_sub_nc_u32_e32 v26, 0x3f1, v28
	v_cvt_f64_f32_e32 v[21:22], v22
	v_or_b32_e32 v30, 0x1000, v17
	v_and_b32_e32 v29, 7, v25
	v_cndmask_b32_e32 v24, 0x7c00, v24, vcc_lo
	v_cmp_eq_u32_e32 vcc_lo, 0x40f, v5
	v_med3_i32 v26, v26, 0, 13
	v_cvt_f32_f16_e32 v9, v9
	v_cmp_eq_u32_e64 s0, 3, v29
	v_lshrrev_b32_e32 v18, 16, v18
	v_cndmask_b32_e32 v5, v24, v15, vcc_lo
	v_lshrrev_b32_e32 v15, 16, v16
	v_lshrrev_b32_e32 v24, v26, v30
	v_cmp_lt_i32_e32 vcc_lo, 5, v29
	v_and_or_b32 v5, 0x8000, v15, v5
	v_lshrrev_b32_e32 v15, 2, v25
	v_lshlrev_b32_e32 v25, v26, v24
	s_or_b32 vcc_lo, s0, vcc_lo
	v_lshl_or_b32 v5, v5, 16, v7
	v_add_co_ci_u32_e32 v26, vcc_lo, 0, v15, vcc_lo
	v_cmp_ne_u32_e32 vcc_lo, v25, v30
	v_mul_f64 v[15:16], v[21:22], s[2:3]
	v_cvt_f64_f32_e32 v[21:22], v9
	v_cndmask_b32_e64 v25, 0, 1, vcc_lo
	v_cmp_ne_u32_e32 vcc_lo, 0, v11
	v_or_b32_e32 v11, v24, v25
	v_cndmask_b32_e64 v9, 0, 1, vcc_lo
	v_cmp_gt_i32_e32 vcc_lo, 31, v23
	v_lshl_or_b32 v24, v27, 12, v17
	v_lshl_or_b32 v9, v9, 9, 0x7c00
	v_cndmask_b32_e32 v25, 0x7c00, v26, vcc_lo
	v_cmp_gt_i32_e32 vcc_lo, 1, v27
	v_cndmask_b32_e32 v24, v24, v11, vcc_lo
	v_cmp_eq_u32_e32 vcc_lo, 0x40f, v23
	v_lshrrev_b32_e32 v11, 16, v12
	v_and_or_b32 v7, 0x1ff, v16, v15
	v_bfe_u32 v15, v16, 20, 11
	v_and_b32_e32 v1, 7, v24
	v_cndmask_b32_e32 v9, v25, v9, vcc_lo
	v_cmp_ne_u32_e64 s1, 0, v7
	v_cmp_lt_i32_e32 vcc_lo, 5, v1
	v_and_or_b32 v3, 0x8000, v11, v9
	v_mul_f64 v[11:12], v[21:22], s[2:3]
	v_cmp_eq_u32_e64 s0, 3, v1
	v_lshrrev_b32_e32 v1, 2, v24
	v_cndmask_b32_e64 v7, 0, 1, s1
	v_lshrrev_b32_e32 v9, 8, v16
	v_lshrrev_b32_e32 v21, 16, v4
	s_or_b32 vcc_lo, s0, vcc_lo
	v_and_b32_e32 v3, 0xffff, v3
	v_add_co_ci_u32_e32 v1, vcc_lo, 0, v1, vcc_lo
	v_and_or_b32 v7, 0xffe, v9, v7
	v_sub_nc_u32_e32 v9, 0x3f1, v15
	v_cmp_ne_u32_e32 vcc_lo, 0, v17
	v_mul_f16_sdwa v14, v69, v21 dst_sel:DWORD dst_unused:UNUSED_PAD src0_sel:WORD_1 src1_sel:DWORD
	v_add_nc_u32_e32 v15, 0xfffffc10, v15
	v_or_b32_e32 v17, 0x1000, v7
	v_med3_i32 v9, v9, 0, 13
	v_cndmask_b32_e64 v13, 0, 1, vcc_lo
	v_cmp_gt_i32_e32 vcc_lo, 31, v27
	v_fmac_f16_e32 v14, v69, v4
	v_lshrrev_b32_e32 v22, v9, v17
	v_lshl_or_b32 v13, v13, 9, 0x7c00
	v_cndmask_b32_e32 v1, 0x7c00, v1, vcc_lo
	v_and_or_b32 v11, 0x1ff, v12, v11
	v_cmp_eq_u32_e32 vcc_lo, 0x40f, v27
	v_lshlrev_b32_e32 v9, v9, v22
	v_lshrrev_b32_e32 v23, 8, v12
	v_bfe_u32 v24, v12, 20, 11
	v_cndmask_b32_e32 v1, v1, v13, vcc_lo
	v_cmp_ne_u32_e32 vcc_lo, 0, v11
	v_cvt_f32_f16_e32 v13, v14
	v_and_or_b32 v1, 0x8000, v18, v1
	v_cndmask_b32_e64 v11, 0, 1, vcc_lo
	v_cmp_ne_u32_e32 vcc_lo, v9, v17
	v_cvt_f64_f32_e32 v[13:14], v13
	v_sub_nc_u32_e32 v17, 0x3f1, v24
	v_lshl_or_b32 v1, v1, 16, v3
	v_and_or_b32 v11, 0xffe, v23, v11
	v_cndmask_b32_e64 v9, 0, 1, vcc_lo
	v_cmp_gt_i32_e32 vcc_lo, 1, v15
	v_med3_i32 v25, v17, 0, 13
	v_or_b32_e32 v23, 0x1000, v11
	v_or_b32_e32 v9, v22, v9
	v_lshl_or_b32 v22, v15, 12, v7
	v_cndmask_b32_e32 v9, v22, v9, vcc_lo
	v_lshrrev_b32_e32 v22, v25, v23
	v_add_co_u32 v17, vcc_lo, v19, s5
	v_add_co_ci_u32_e32 v18, vcc_lo, s4, v20, vcc_lo
	v_lshlrev_b32_e32 v20, v25, v22
	v_and_b32_e32 v19, 7, v9
	v_mul_f64 v[13:14], v[13:14], s[2:3]
	v_mul_f16_sdwa v25, v69, v4 dst_sel:DWORD dst_unused:UNUSED_PAD src0_sel:WORD_1 src1_sel:DWORD
	v_add_co_u32 v3, vcc_lo, v17, s5
	v_cmp_ne_u32_e64 s0, v20, v23
	v_add_co_ci_u32_e32 v4, vcc_lo, s4, v18, vcc_lo
	v_cmp_lt_i32_e32 vcc_lo, 5, v19
	v_fma_f16 v21, v69, v21, -v25
	v_cndmask_b32_e64 v20, 0, 1, s0
	v_cmp_eq_u32_e64 s0, 3, v19
	v_lshrrev_b32_e32 v9, 2, v9
	v_add_nc_u32_e32 v23, 0xfffffc10, v24
	v_cvt_f32_f16_e32 v21, v21
	v_or_b32_e32 v22, v22, v20
	s_or_b32 vcc_lo, s0, vcc_lo
	global_store_dword v[17:18], v5, off
	global_store_dword v[3:4], v1, off
	v_add_co_ci_u32_e32 v9, vcc_lo, 0, v9, vcc_lo
	v_cmp_ne_u32_e32 vcc_lo, 0, v7
	v_cvt_f64_f32_e32 v[19:20], v21
	v_lshl_or_b32 v24, v23, 12, v11
	v_and_or_b32 v13, 0x1ff, v14, v13
	v_bfe_u32 v25, v14, 20, 11
	v_cndmask_b32_e64 v7, 0, 1, vcc_lo
	v_cmp_gt_i32_e32 vcc_lo, 1, v23
	v_lshl_or_b32 v7, v7, 9, 0x7c00
	v_cndmask_b32_e32 v21, v24, v22, vcc_lo
	v_cmp_gt_i32_e32 vcc_lo, 31, v15
	v_lshrrev_b32_e32 v24, 8, v14
	v_and_b32_e32 v22, 7, v21
	v_cndmask_b32_e32 v9, 0x7c00, v9, vcc_lo
	v_cmp_ne_u32_e32 vcc_lo, 0, v13
	v_cmp_eq_u32_e64 s0, 3, v22
	v_cndmask_b32_e64 v13, 0, 1, vcc_lo
	v_cmp_eq_u32_e32 vcc_lo, 0x40f, v15
	v_and_or_b32 v13, 0xffe, v24, v13
	v_cndmask_b32_e32 v7, v9, v7, vcc_lo
	v_cmp_lt_i32_e32 vcc_lo, 5, v22
	v_lshrrev_b32_e32 v9, 16, v16
	v_mul_f64 v[15:16], v[19:20], s[2:3]
	v_lshrrev_b32_e32 v20, 2, v21
	v_sub_nc_u32_e32 v24, 0x3f1, v25
	s_or_b32 vcc_lo, s0, vcc_lo
	v_or_b32_e32 v21, 0x1000, v13
	v_lshrrev_b32_e32 v19, 16, v8
	v_add_co_ci_u32_e32 v20, vcc_lo, 0, v20, vcc_lo
	v_med3_i32 v22, v24, 0, 13
	v_cmp_ne_u32_e32 vcc_lo, 0, v11
	v_mul_f16_sdwa v24, v68, v19 dst_sel:DWORD dst_unused:UNUSED_PAD src0_sel:WORD_1 src1_sel:DWORD
	v_and_or_b32 v7, 0x8000, v9, v7
	v_lshrrev_b32_e32 v26, v22, v21
	v_cndmask_b32_e64 v11, 0, 1, vcc_lo
	v_cmp_gt_i32_e32 vcc_lo, 31, v23
	v_fmac_f16_e32 v24, v68, v8
	v_and_b32_e32 v7, 0xffff, v7
	v_lshlrev_b32_e32 v9, v22, v26
	v_lshl_or_b32 v11, v11, 9, 0x7c00
	v_cndmask_b32_e32 v20, 0x7c00, v20, vcc_lo
	v_cmp_eq_u32_e32 vcc_lo, 0x40f, v23
	v_and_or_b32 v15, 0x1ff, v16, v15
	v_cvt_f32_f16_e32 v22, v24
	v_lshrrev_b32_e32 v23, 16, v12
	v_bfe_u32 v24, v16, 20, 11
	v_cndmask_b32_e32 v20, v20, v11, vcc_lo
	v_cmp_ne_u32_e32 vcc_lo, v9, v21
	v_cvt_f64_f32_e32 v[11:12], v22
	v_add_nc_u32_e32 v21, 0xfffffc10, v25
	v_lshrrev_b32_e32 v22, 8, v16
	v_and_or_b32 v20, 0x8000, v23, v20
	v_cndmask_b32_e64 v9, 0, 1, vcc_lo
	v_cmp_ne_u32_e32 vcc_lo, 0, v15
	v_lshl_or_b32 v23, v21, 12, v13
	v_mul_f16_sdwa v8, v68, v8 dst_sel:DWORD dst_unused:UNUSED_PAD src0_sel:WORD_1 src1_sel:DWORD
	v_lshl_or_b32 v1, v20, 16, v7
	v_or_b32_e32 v9, v26, v9
	v_cndmask_b32_e64 v15, 0, 1, vcc_lo
	v_cmp_gt_i32_e32 vcc_lo, 1, v21
	v_fma_f16 v8, v68, v19, -v8
	v_and_or_b32 v15, 0xffe, v22, v15
	v_sub_nc_u32_e32 v22, 0x3f1, v24
	v_cndmask_b32_e32 v9, v23, v9, vcc_lo
	v_add_co_u32 v3, vcc_lo, v3, s5
	v_or_b32_e32 v23, 0x1000, v15
	v_med3_i32 v22, v22, 0, 13
	v_and_b32_e32 v5, 7, v9
	v_mul_f64 v[11:12], v[11:12], s[2:3]
	v_add_co_ci_u32_e32 v4, vcc_lo, s4, v4, vcc_lo
	v_lshrrev_b32_e32 v7, v22, v23
	v_cmp_lt_i32_e32 vcc_lo, 5, v5
	v_cmp_eq_u32_e64 s0, 3, v5
	v_lshrrev_b32_e32 v5, 2, v9
	v_cvt_f32_f16_e32 v8, v8
	v_lshlrev_b32_e32 v17, v22, v7
	global_store_dword v[3:4], v1, off
	s_or_b32 vcc_lo, s0, vcc_lo
	v_add_co_ci_u32_e32 v5, vcc_lo, 0, v5, vcc_lo
	v_cmp_ne_u32_e64 s1, v17, v23
	v_add_nc_u32_e32 v17, 0xfffffc10, v24
	v_cmp_ne_u32_e32 vcc_lo, 0, v13
	v_cndmask_b32_e64 v9, 0, 1, s1
	v_lshl_or_b32 v18, v17, 12, v15
	v_cndmask_b32_e64 v13, 0, 1, vcc_lo
	v_cmp_gt_i32_e32 vcc_lo, 1, v17
	v_and_or_b32 v11, 0x1ff, v12, v11
	v_or_b32_e32 v9, v7, v9
	v_cvt_f64_f32_e32 v[7:8], v8
	v_lshl_or_b32 v13, v13, 9, 0x7c00
	v_lshrrev_b32_e32 v19, 8, v12
	v_bfe_u32 v20, v12, 20, 11
	v_cndmask_b32_e32 v9, v18, v9, vcc_lo
	v_cmp_gt_i32_e32 vcc_lo, 31, v21
	v_lshrrev_b32_e32 v12, 16, v12
	v_and_b32_e32 v18, 7, v9
	v_cndmask_b32_e32 v5, 0x7c00, v5, vcc_lo
	v_cmp_ne_u32_e32 vcc_lo, 0, v11
	v_lshrrev_b32_e32 v9, 2, v9
	v_cmp_eq_u32_e64 s0, 3, v18
	v_cndmask_b32_e64 v11, 0, 1, vcc_lo
	v_cmp_eq_u32_e32 vcc_lo, 0x40f, v21
	v_and_or_b32 v11, 0xffe, v19, v11
	v_cndmask_b32_e32 v5, v5, v13, vcc_lo
	v_cmp_lt_i32_e32 vcc_lo, 5, v18
	v_mul_f64 v[7:8], v[7:8], s[2:3]
	v_lshrrev_b32_e32 v13, 16, v14
	v_sub_nc_u32_e32 v14, 0x3f1, v20
	v_lshrrev_b32_e32 v18, 16, v2
	s_or_b32 vcc_lo, s0, vcc_lo
	v_or_b32_e32 v19, 0x1000, v11
	v_add_co_ci_u32_e32 v9, vcc_lo, 0, v9, vcc_lo
	v_med3_i32 v14, v14, 0, 13
	v_cmp_ne_u32_e32 vcc_lo, 0, v15
	v_mul_f16_sdwa v21, v67, v18 dst_sel:DWORD dst_unused:UNUSED_PAD src0_sel:WORD_1 src1_sel:DWORD
	v_and_or_b32 v5, 0x8000, v13, v5
	v_lshrrev_b32_e32 v22, v14, v19
	v_cndmask_b32_e64 v15, 0, 1, vcc_lo
	v_cmp_gt_i32_e32 vcc_lo, 31, v17
	v_fmac_f16_e32 v21, v67, v2
	v_and_b32_e32 v5, 0xffff, v5
	v_lshlrev_b32_e32 v13, v14, v22
	v_lshl_or_b32 v15, v15, 9, 0x7c00
	v_cndmask_b32_e32 v9, 0x7c00, v9, vcc_lo
	v_cmp_eq_u32_e32 vcc_lo, 0x40f, v17
	v_cvt_f32_f16_e32 v14, v21
	v_and_or_b32 v7, 0x1ff, v8, v7
	v_add_nc_u32_e32 v17, 0xfffffc10, v20
	v_lshrrev_b32_e32 v21, 8, v8
	v_cndmask_b32_e32 v9, v9, v15, vcc_lo
	v_cmp_ne_u32_e32 vcc_lo, v13, v19
	v_cvt_f64_f32_e32 v[13:14], v14
	v_lshrrev_b32_e32 v15, 16, v16
	v_lshl_or_b32 v20, v17, 12, v11
	v_mul_f16_sdwa v2, v67, v2 dst_sel:DWORD dst_unused:UNUSED_PAD src0_sel:WORD_1 src1_sel:DWORD
	v_cndmask_b32_e64 v16, 0, 1, vcc_lo
	v_cmp_ne_u32_e32 vcc_lo, 0, v7
	v_and_or_b32 v9, 0x8000, v15, v9
	v_fma_f16 v2, v67, v18, -v2
	v_or_b32_e32 v19, v22, v16
	v_cndmask_b32_e64 v7, 0, 1, vcc_lo
	v_bfe_u32 v22, v8, 20, 11
	v_cmp_gt_i32_e32 vcc_lo, 1, v17
	v_mad_u64_u32 v[15:16], null, 0xfffff190, s8, v[3:4]
	v_and_or_b32 v7, 0xffe, v21, v7
	v_lshl_or_b32 v1, v9, 16, v5
	v_cndmask_b32_e32 v19, v20, v19, vcc_lo
	v_sub_nc_u32_e32 v20, 0x3f1, v22
	v_lshrrev_b32_e32 v8, 16, v8
	v_or_b32_e32 v9, 0x1000, v7
	v_add_nc_u32_e32 v16, s6, v16
	v_and_b32_e32 v5, 7, v19
	v_med3_i32 v20, v20, 0, 13
	v_mul_f64 v[3:4], v[13:14], s[2:3]
	global_store_dword v[15:16], v1, off
	v_cmp_lt_i32_e32 vcc_lo, 5, v5
	v_lshrrev_b32_e32 v13, v20, v9
	v_cmp_eq_u32_e64 s0, 3, v5
	v_lshrrev_b32_e32 v1, 2, v19
	v_lshlrev_b32_e32 v5, v20, v13
	s_or_b32 vcc_lo, s0, vcc_lo
	v_add_co_ci_u32_e32 v14, vcc_lo, 0, v1, vcc_lo
	v_cmp_ne_u32_e32 vcc_lo, v5, v9
	v_cvt_f32_f16_e32 v1, v2
	v_add_nc_u32_e32 v9, 0xfffffc10, v22
	v_cndmask_b32_e64 v5, 0, 1, vcc_lo
	v_cmp_ne_u32_e32 vcc_lo, 0, v11
	v_cvt_f64_f32_e32 v[1:2], v1
	v_and_or_b32 v3, 0x1ff, v4, v3
	v_bfe_u32 v18, v4, 20, 11
	v_or_b32_e32 v5, v13, v5
	v_cndmask_b32_e64 v11, 0, 1, vcc_lo
	v_cmp_gt_i32_e32 vcc_lo, 31, v17
	v_lshl_or_b32 v13, v9, 12, v7
	v_lshl_or_b32 v11, v11, 9, 0x7c00
	v_cndmask_b32_e32 v14, 0x7c00, v14, vcc_lo
	v_cmp_gt_i32_e32 vcc_lo, 1, v9
	v_cndmask_b32_e32 v5, v13, v5, vcc_lo
	v_cmp_ne_u32_e32 vcc_lo, 0, v3
	v_lshrrev_b32_e32 v13, 8, v4
	v_lshrrev_b32_e32 v4, 16, v4
	v_cndmask_b32_e64 v3, 0, 1, vcc_lo
	v_cmp_eq_u32_e32 vcc_lo, 0x40f, v17
	v_lshrrev_b32_e32 v17, 16, v6
	v_mul_f64 v[1:2], v[1:2], s[2:3]
	v_and_or_b32 v3, 0xffe, v13, v3
	v_cndmask_b32_e32 v11, v14, v11, vcc_lo
	v_and_b32_e32 v14, 7, v5
	v_sub_nc_u32_e32 v13, 0x3f1, v18
	v_lshrrev_b32_e32 v5, 2, v5
	v_or_b32_e32 v19, 0x1000, v3
	v_mul_f16_sdwa v20, v66, v17 dst_sel:DWORD dst_unused:UNUSED_PAD src0_sel:WORD_1 src1_sel:DWORD
	v_cmp_lt_i32_e32 vcc_lo, 5, v14
	v_cmp_eq_u32_e64 s0, 3, v14
	v_med3_i32 v13, v13, 0, 13
	v_and_or_b32 v14, 0x8000, v12, v11
	v_fmac_f16_e32 v20, v66, v6
	v_add_nc_u32_e32 v18, 0xfffffc10, v18
	s_or_b32 vcc_lo, s0, vcc_lo
	v_lshrrev_b32_e32 v21, v13, v19
	v_add_co_ci_u32_e32 v5, vcc_lo, 0, v5, vcc_lo
	v_cmp_ne_u32_e32 vcc_lo, 0, v7
	v_cvt_f32_f16_e32 v11, v20
	v_lshlrev_b32_e32 v13, v13, v21
	v_and_or_b32 v1, 0x1ff, v2, v1
	v_and_b32_e32 v14, 0xffff, v14
	v_cndmask_b32_e64 v7, 0, 1, vcc_lo
	v_cmp_gt_i32_e32 vcc_lo, 31, v9
	v_cvt_f64_f32_e32 v[11:12], v11
	v_mul_f16_sdwa v6, v66, v6 dst_sel:DWORD dst_unused:UNUSED_PAD src0_sel:WORD_1 src1_sel:DWORD
	v_lshl_or_b32 v7, v7, 9, 0x7c00
	v_cndmask_b32_e32 v5, 0x7c00, v5, vcc_lo
	v_cmp_ne_u32_e32 vcc_lo, v13, v19
	v_bfe_u32 v19, v2, 20, 11
	v_cndmask_b32_e64 v13, 0, 1, vcc_lo
	v_cmp_eq_u32_e32 vcc_lo, 0x40f, v9
	v_lshl_or_b32 v9, v18, 12, v3
	v_cndmask_b32_e32 v5, v5, v7, vcc_lo
	v_cmp_ne_u32_e32 vcc_lo, 0, v1
	v_or_b32_e32 v7, v21, v13
	v_lshrrev_b32_e32 v13, 8, v2
	v_and_or_b32 v5, 0x8000, v8, v5
	v_cndmask_b32_e64 v1, 0, 1, vcc_lo
	v_cmp_gt_i32_e32 vcc_lo, 1, v18
	v_and_or_b32 v1, 0xffe, v13, v1
	v_sub_nc_u32_e32 v13, 0x3f1, v19
	v_cndmask_b32_e32 v9, v9, v7, vcc_lo
	v_mul_f64 v[7:8], v[11:12], s[2:3]
	v_fma_f16 v12, v66, v17, -v6
	v_or_b32_e32 v21, 0x1000, v1
	v_med3_i32 v11, v13, 0, 13
	v_and_b32_e32 v20, 7, v9
	v_lshl_or_b32 v13, v5, 16, v14
	v_lshrrev_b32_e32 v9, 2, v9
	v_add_co_u32 v5, s1, v15, s5
	v_lshrrev_b32_e32 v14, v11, v21
	v_cmp_lt_i32_e32 vcc_lo, 5, v20
	v_cmp_eq_u32_e64 s0, 3, v20
	v_cvt_f32_f16_e32 v12, v12
	v_add_co_ci_u32_e64 v6, s1, s4, v16, s1
	v_lshlrev_b32_e32 v11, v11, v14
	s_or_b32 vcc_lo, s0, vcc_lo
	v_add_nc_u32_e32 v16, 0xfffffc10, v19
	v_add_co_ci_u32_e32 v9, vcc_lo, 0, v9, vcc_lo
	v_cmp_ne_u32_e32 vcc_lo, v11, v21
	v_cvt_f64_f32_e32 v[11:12], v12
	v_and_or_b32 v7, 0x1ff, v8, v7
	v_lshrrev_b32_e32 v17, 8, v8
	v_bfe_u32 v19, v8, 20, 11
	v_cndmask_b32_e64 v15, 0, 1, vcc_lo
	v_cmp_gt_i32_e32 vcc_lo, 31, v18
	v_lshrrev_b32_e32 v8, 16, v8
	v_or_b32_e32 v14, v14, v15
	v_cndmask_b32_e32 v9, 0x7c00, v9, vcc_lo
	v_cmp_ne_u32_e32 vcc_lo, 0, v7
	v_lshl_or_b32 v15, v16, 12, v1
	v_cndmask_b32_e64 v7, 0, 1, vcc_lo
	v_cmp_ne_u32_e32 vcc_lo, 0, v3
	v_and_or_b32 v7, 0xffe, v17, v7
	v_cndmask_b32_e64 v3, 0, 1, vcc_lo
	v_cmp_gt_i32_e32 vcc_lo, 1, v16
	v_lshrrev_b32_e32 v17, 16, v0
	v_mul_f64 v[11:12], v[11:12], s[2:3]
	v_or_b32_e32 v21, 0x1000, v7
	v_lshl_or_b32 v3, v3, 9, 0x7c00
	v_cndmask_b32_e32 v14, v15, v14, vcc_lo
	v_sub_nc_u32_e32 v15, 0x3f1, v19
	v_cmp_eq_u32_e32 vcc_lo, 0x40f, v18
	v_mul_f16_sdwa v22, v65, v17 dst_sel:DWORD dst_unused:UNUSED_PAD src0_sel:WORD_1 src1_sel:DWORD
	v_add_nc_u32_e32 v19, 0xfffffc10, v19
	v_and_b32_e32 v20, 7, v14
	v_med3_i32 v15, v15, 0, 13
	v_cndmask_b32_e32 v3, v9, v3, vcc_lo
	v_fmac_f16_e32 v22, v65, v0
	v_mul_f16_sdwa v0, v65, v0 dst_sel:DWORD dst_unused:UNUSED_PAD src0_sel:WORD_1 src1_sel:DWORD
	v_cmp_lt_i32_e32 vcc_lo, 5, v20
	v_lshrrev_b32_e32 v9, v15, v21
	v_cmp_eq_u32_e64 s0, 3, v20
	v_and_or_b32 v18, 0x8000, v4, v3
	v_lshrrev_b32_e32 v3, 2, v14
	v_cvt_f32_f16_e32 v14, v22
	v_lshlrev_b32_e32 v4, v15, v9
	s_or_b32 vcc_lo, s0, vcc_lo
	v_fma_f16 v0, v65, v17, -v0
	v_add_co_ci_u32_e32 v15, vcc_lo, 0, v3, vcc_lo
	v_cmp_ne_u32_e32 vcc_lo, v4, v21
	v_cvt_f64_f32_e32 v[3:4], v14
	v_lshl_or_b32 v14, v19, 12, v7
	v_and_or_b32 v11, 0x1ff, v12, v11
	v_cvt_f32_f16_e32 v0, v0
	v_cndmask_b32_e64 v20, 0, 1, vcc_lo
	v_cmp_ne_u32_e32 vcc_lo, 0, v1
	v_or_b32_e32 v9, v9, v20
	v_cndmask_b32_e64 v1, 0, 1, vcc_lo
	v_cmp_gt_i32_e32 vcc_lo, 31, v16
	v_bfe_u32 v20, v12, 20, 11
	v_lshl_or_b32 v1, v1, 9, 0x7c00
	v_cndmask_b32_e32 v15, 0x7c00, v15, vcc_lo
	v_cmp_gt_i32_e32 vcc_lo, 1, v19
	v_cndmask_b32_e32 v9, v14, v9, vcc_lo
	v_cmp_ne_u32_e32 vcc_lo, 0, v11
	v_lshrrev_b32_e32 v14, 8, v12
	v_lshrrev_b32_e32 v12, 16, v12
	v_and_b32_e32 v21, 7, v9
	v_cndmask_b32_e64 v11, 0, 1, vcc_lo
	v_cmp_eq_u32_e32 vcc_lo, 0x40f, v16
	v_lshrrev_b32_e32 v16, 16, v2
	v_lshrrev_b32_e32 v9, 2, v9
	v_cmp_eq_u32_e64 s0, 3, v21
	v_and_or_b32 v11, 0xffe, v14, v11
	v_sub_nc_u32_e32 v14, 0x3f1, v20
	v_cndmask_b32_e32 v15, v15, v1, vcc_lo
	v_cmp_lt_i32_e32 vcc_lo, 5, v21
	v_mul_f64 v[1:2], v[3:4], s[2:3]
	v_or_b32_e32 v3, 0x1000, v11
	v_med3_i32 v4, v14, 0, 13
	v_and_or_b32 v14, 0x8000, v16, v15
	s_or_b32 vcc_lo, s0, vcc_lo
	v_and_b32_e32 v15, 0xffff, v18
	v_add_co_ci_u32_e32 v9, vcc_lo, 0, v9, vcc_lo
	v_lshrrev_b32_e32 v16, v4, v3
	v_cmp_ne_u32_e32 vcc_lo, 0, v7
	v_lshl_or_b32 v14, v14, 16, v15
	v_add_nc_u32_e32 v15, 0xfffffc10, v20
	v_lshlrev_b32_e32 v4, v4, v16
	v_cndmask_b32_e64 v7, 0, 1, vcc_lo
	v_cmp_gt_i32_e32 vcc_lo, 31, v19
	v_lshl_or_b32 v7, v7, 9, 0x7c00
	v_cndmask_b32_e32 v9, 0x7c00, v9, vcc_lo
	v_cmp_ne_u32_e32 vcc_lo, v4, v3
	v_and_or_b32 v1, 0x1ff, v2, v1
	v_lshl_or_b32 v4, v15, 12, v11
	v_bfe_u32 v17, v2, 20, 11
	v_cndmask_b32_e64 v3, 0, 1, vcc_lo
	v_cmp_eq_u32_e32 vcc_lo, 0x40f, v19
	v_or_b32_e32 v3, v16, v3
	v_cndmask_b32_e32 v7, v9, v7, vcc_lo
	v_cmp_ne_u32_e32 vcc_lo, 0, v1
	v_lshrrev_b32_e32 v16, 8, v2
	v_cvt_f64_f32_e32 v[0:1], v0
	v_lshrrev_b32_e32 v2, 16, v2
	v_and_or_b32 v23, 0x8000, v8, v7
	v_cndmask_b32_e64 v9, 0, 1, vcc_lo
	v_cmp_gt_i32_e32 vcc_lo, 1, v15
	v_and_or_b32 v16, 0xffe, v16, v9
	v_cndmask_b32_e32 v18, v4, v3, vcc_lo
	v_sub_nc_u32_e32 v3, 0x3f1, v17
	v_lshrrev_b32_e32 v9, 16, v10
	v_add_nc_u32_e32 v17, 0xfffffc10, v17
	v_or_b32_e32 v20, 0x1000, v16
	v_and_b32_e32 v19, 7, v18
	v_med3_i32 v21, v3, 0, 13
	v_mul_f16_sdwa v22, v64, v9 dst_sel:DWORD dst_unused:UNUSED_PAD src0_sel:WORD_1 src1_sel:DWORD
	v_add_co_u32 v3, vcc_lo, v5, s5
	v_add_co_ci_u32_e32 v4, vcc_lo, s4, v6, vcc_lo
	v_lshrrev_b32_e32 v24, v21, v20
	v_fmac_f16_e32 v22, v64, v10
	v_cmp_lt_i32_e32 vcc_lo, 5, v19
	v_cmp_eq_u32_e64 s0, 3, v19
	v_lshrrev_b32_e32 v7, 2, v18
	v_lshlrev_b32_e32 v18, v21, v24
	v_cvt_f32_f16_e32 v8, v22
	v_mul_f64 v[0:1], v[0:1], s[2:3]
	s_or_b32 vcc_lo, s0, vcc_lo
	v_mul_f16_sdwa v10, v64, v10 dst_sel:DWORD dst_unused:UNUSED_PAD src0_sel:WORD_1 src1_sel:DWORD
	v_add_co_ci_u32_e32 v19, vcc_lo, 0, v7, vcc_lo
	v_cmp_ne_u32_e32 vcc_lo, v18, v20
	v_cvt_f64_f32_e32 v[7:8], v8
	v_lshl_or_b32 v20, v17, 12, v16
	v_fma_f16 v9, v64, v9, -v10
	v_cndmask_b32_e64 v18, 0, 1, vcc_lo
	v_cmp_ne_u32_e32 vcc_lo, 0, v11
	v_cvt_f32_f16_e32 v9, v9
	v_or_b32_e32 v18, v24, v18
	v_cndmask_b32_e64 v11, 0, 1, vcc_lo
	v_cmp_gt_i32_e32 vcc_lo, 31, v15
	v_lshl_or_b32 v11, v11, 9, 0x7c00
	v_cndmask_b32_e32 v10, 0x7c00, v19, vcc_lo
	v_cmp_gt_i32_e32 vcc_lo, 1, v17
	v_and_or_b32 v0, 0x1ff, v1, v0
	v_lshrrev_b32_e32 v19, 8, v1
	v_cndmask_b32_e32 v18, v20, v18, vcc_lo
	v_cmp_eq_u32_e32 vcc_lo, 0x40f, v15
	v_mul_f64 v[7:8], v[7:8], s[2:3]
	v_bfe_u32 v20, v1, 20, 11
	v_lshrrev_b32_e32 v1, 16, v1
	v_and_b32_e32 v15, 7, v18
	v_cndmask_b32_e32 v11, v10, v11, vcc_lo
	v_cvt_f64_f32_e32 v[9:10], v9
	v_cmp_ne_u32_e32 vcc_lo, 0, v0
	v_cmp_eq_u32_e64 s0, 3, v15
	v_and_or_b32 v11, 0x8000, v12, v11
	v_and_b32_e32 v12, 0xffff, v23
	v_cndmask_b32_e64 v0, 0, 1, vcc_lo
	v_cmp_lt_i32_e32 vcc_lo, 5, v15
	v_lshl_or_b32 v11, v11, 16, v12
	v_lshrrev_b32_e32 v12, 2, v18
	v_and_or_b32 v0, 0xffe, v19, v0
	v_sub_nc_u32_e32 v19, 0x3f1, v20
	s_or_b32 vcc_lo, s0, vcc_lo
	v_add_co_ci_u32_e32 v12, vcc_lo, 0, v12, vcc_lo
	v_or_b32_e32 v15, 0x1000, v0
	v_med3_i32 v18, v19, 0, 13
	v_cmp_ne_u32_e32 vcc_lo, 0, v16
	v_and_or_b32 v7, 0x1ff, v8, v7
	v_mul_f64 v[9:10], v[9:10], s[2:3]
	v_lshrrev_b32_e32 v21, 8, v8
	v_lshrrev_b32_e32 v19, v18, v15
	v_cndmask_b32_e64 v16, 0, 1, vcc_lo
	v_cmp_gt_i32_e32 vcc_lo, 31, v17
	v_bfe_u32 v22, v8, 20, 11
	v_lshrrev_b32_e32 v8, 16, v8
	v_lshlrev_b32_e32 v18, v18, v19
	v_lshl_or_b32 v16, v16, 9, 0x7c00
	v_cndmask_b32_e32 v12, 0x7c00, v12, vcc_lo
	v_cmp_ne_u32_e32 vcc_lo, 0, v7
	v_cndmask_b32_e64 v7, 0, 1, vcc_lo
	v_cmp_ne_u32_e32 vcc_lo, v18, v15
	v_add_nc_u32_e32 v18, 0xfffffc10, v20
	v_sub_nc_u32_e32 v20, 0x3f1, v22
	v_and_or_b32 v7, 0xffe, v21, v7
	v_cndmask_b32_e64 v15, 0, 1, vcc_lo
	v_cmp_eq_u32_e32 vcc_lo, 0x40f, v17
	v_and_or_b32 v9, 0x1ff, v10, v9
	v_bfe_u32 v21, v10, 20, 11
	v_or_b32_e32 v17, 0x1000, v7
	v_or_b32_e32 v15, v19, v15
	v_cndmask_b32_e32 v12, v12, v16, vcc_lo
	v_lshl_or_b32 v16, v18, 12, v0
	v_med3_i32 v19, v20, 0, 13
	v_cmp_gt_i32_e32 vcc_lo, 1, v18
	v_lshrrev_b32_e32 v20, 8, v10
	v_and_or_b32 v2, 0x8000, v2, v12
	v_sub_nc_u32_e32 v12, 0x3f1, v21
	v_cndmask_b32_e32 v15, v16, v15, vcc_lo
	v_lshrrev_b32_e32 v16, v19, v17
	v_cmp_ne_u32_e32 vcc_lo, 0, v9
	v_med3_i32 v12, v12, 0, 13
	v_and_b32_e32 v2, 0xffff, v2
	v_and_b32_e32 v23, 7, v15
	v_lshlrev_b32_e32 v19, v19, v16
	v_cndmask_b32_e64 v9, 0, 1, vcc_lo
	v_lshrrev_b32_e32 v15, 2, v15
	v_cmp_lt_i32_e32 vcc_lo, 5, v23
	v_cmp_ne_u32_e64 s0, v19, v17
	v_and_or_b32 v9, 0xffe, v20, v9
	v_add_nc_u32_e32 v20, 0xfffffc10, v22
	v_cndmask_b32_e64 v17, 0, 1, s0
	v_cmp_eq_u32_e64 s0, 3, v23
	v_or_b32_e32 v19, 0x1000, v9
	v_lshl_or_b32 v22, v20, 12, v7
	v_or_b32_e32 v16, v16, v17
	s_or_b32 vcc_lo, s0, vcc_lo
	v_lshrrev_b32_e32 v17, v12, v19
	v_add_co_ci_u32_e32 v15, vcc_lo, 0, v15, vcc_lo
	v_cmp_gt_i32_e32 vcc_lo, 1, v20
	v_lshlrev_b32_e32 v12, v12, v17
	v_cndmask_b32_e32 v16, v22, v16, vcc_lo
	v_cmp_ne_u32_e32 vcc_lo, 0, v0
	v_cndmask_b32_e64 v0, 0, 1, vcc_lo
	v_cmp_ne_u32_e32 vcc_lo, v12, v19
	v_add_nc_u32_e32 v19, 0xfffffc10, v21
	v_and_b32_e32 v21, 7, v16
	v_lshl_or_b32 v0, v0, 9, 0x7c00
	v_cndmask_b32_e64 v12, 0, 1, vcc_lo
	v_cmp_gt_i32_e32 vcc_lo, 31, v18
	v_cmp_gt_i32_e64 s1, 1, v19
	v_cmp_eq_u32_e64 s0, 3, v21
	v_or_b32_e32 v12, v17, v12
	v_lshl_or_b32 v17, v19, 12, v9
	v_cndmask_b32_e32 v15, 0x7c00, v15, vcc_lo
	v_cmp_lt_i32_e32 vcc_lo, 5, v21
	v_cndmask_b32_e64 v12, v17, v12, s1
	v_cmp_eq_u32_e64 s1, 0x40f, v18
	s_or_b32 vcc_lo, s0, vcc_lo
	v_cndmask_b32_e64 v0, v15, v0, s1
	v_lshrrev_b32_e32 v15, 2, v16
	v_and_b32_e32 v16, 7, v12
	v_lshrrev_b32_e32 v12, 2, v12
	v_cmp_gt_i32_e64 s1, 31, v20
	v_add_co_ci_u32_e32 v15, vcc_lo, 0, v15, vcc_lo
	v_cmp_ne_u32_e32 vcc_lo, 0, v7
	v_cmp_eq_u32_e64 s0, 3, v16
	v_cndmask_b32_e64 v15, 0x7c00, v15, s1
	v_cndmask_b32_e64 v7, 0, 1, vcc_lo
	v_cmp_lt_i32_e32 vcc_lo, 5, v16
	v_lshl_or_b32 v7, v7, 9, 0x7c00
	s_or_b32 vcc_lo, s0, vcc_lo
	v_add_co_ci_u32_e32 v12, vcc_lo, 0, v12, vcc_lo
	v_cmp_ne_u32_e32 vcc_lo, 0, v9
	v_cndmask_b32_e64 v9, 0, 1, vcc_lo
	v_cmp_eq_u32_e32 vcc_lo, 0x40f, v20
	v_lshl_or_b32 v9, v9, 9, 0x7c00
	v_cndmask_b32_e32 v7, v15, v7, vcc_lo
	v_cmp_gt_i32_e32 vcc_lo, 31, v19
	v_and_or_b32 v15, 0x8000, v1, v0
	v_and_or_b32 v7, 0x8000, v8, v7
	v_cndmask_b32_e32 v12, 0x7c00, v12, vcc_lo
	v_cmp_eq_u32_e32 vcc_lo, 0x40f, v19
	v_lshl_or_b32 v2, v15, 16, v2
	v_cndmask_b32_e32 v8, v12, v9, vcc_lo
	v_lshrrev_b32_e32 v9, 16, v10
	v_add_co_u32 v0, vcc_lo, v3, s5
	v_add_co_ci_u32_e32 v1, vcc_lo, s4, v4, vcc_lo
	v_and_or_b32 v9, 0x8000, v9, v8
	v_and_b32_e32 v10, 0xffff, v7
	v_add_co_u32 v7, vcc_lo, v0, s5
	v_add_co_ci_u32_e32 v8, vcc_lo, s4, v1, vcc_lo
	v_lshl_or_b32 v12, v9, 16, v10
	v_add_co_u32 v9, vcc_lo, v7, s5
	v_add_co_ci_u32_e32 v10, vcc_lo, s4, v8, vcc_lo
	global_store_dword v[5:6], v13, off
	global_store_dword v[3:4], v14, off
	;; [unrolled: 1-line block ×5, first 2 shown]
.LBB0_10:
	s_endpgm
	.section	.rodata,"a",@progbits
	.p2align	6, 0x0
	.amdhsa_kernel bluestein_single_fwd_len1188_dim1_half_op_CI_CI
		.amdhsa_group_segment_fixed_size 14256
		.amdhsa_private_segment_fixed_size 0
		.amdhsa_kernarg_size 104
		.amdhsa_user_sgpr_count 6
		.amdhsa_user_sgpr_private_segment_buffer 1
		.amdhsa_user_sgpr_dispatch_ptr 0
		.amdhsa_user_sgpr_queue_ptr 0
		.amdhsa_user_sgpr_kernarg_segment_ptr 1
		.amdhsa_user_sgpr_dispatch_id 0
		.amdhsa_user_sgpr_flat_scratch_init 0
		.amdhsa_user_sgpr_private_segment_size 0
		.amdhsa_wavefront_size32 1
		.amdhsa_uses_dynamic_stack 0
		.amdhsa_system_sgpr_private_segment_wavefront_offset 0
		.amdhsa_system_sgpr_workgroup_id_x 1
		.amdhsa_system_sgpr_workgroup_id_y 0
		.amdhsa_system_sgpr_workgroup_id_z 0
		.amdhsa_system_sgpr_workgroup_info 0
		.amdhsa_system_vgpr_workitem_id 0
		.amdhsa_next_free_vgpr 213
		.amdhsa_next_free_sgpr 20
		.amdhsa_reserve_vcc 1
		.amdhsa_reserve_flat_scratch 0
		.amdhsa_float_round_mode_32 0
		.amdhsa_float_round_mode_16_64 0
		.amdhsa_float_denorm_mode_32 3
		.amdhsa_float_denorm_mode_16_64 3
		.amdhsa_dx10_clamp 1
		.amdhsa_ieee_mode 1
		.amdhsa_fp16_overflow 0
		.amdhsa_workgroup_processor_mode 1
		.amdhsa_memory_ordered 1
		.amdhsa_forward_progress 0
		.amdhsa_shared_vgpr_count 0
		.amdhsa_exception_fp_ieee_invalid_op 0
		.amdhsa_exception_fp_denorm_src 0
		.amdhsa_exception_fp_ieee_div_zero 0
		.amdhsa_exception_fp_ieee_overflow 0
		.amdhsa_exception_fp_ieee_underflow 0
		.amdhsa_exception_fp_ieee_inexact 0
		.amdhsa_exception_int_div_zero 0
	.end_amdhsa_kernel
	.text
.Lfunc_end0:
	.size	bluestein_single_fwd_len1188_dim1_half_op_CI_CI, .Lfunc_end0-bluestein_single_fwd_len1188_dim1_half_op_CI_CI
                                        ; -- End function
	.section	.AMDGPU.csdata,"",@progbits
; Kernel info:
; codeLenInByte = 32924
; NumSgprs: 22
; NumVgprs: 213
; ScratchSize: 0
; MemoryBound: 0
; FloatMode: 240
; IeeeMode: 1
; LDSByteSize: 14256 bytes/workgroup (compile time only)
; SGPRBlocks: 2
; VGPRBlocks: 26
; NumSGPRsForWavesPerEU: 22
; NumVGPRsForWavesPerEU: 213
; Occupancy: 4
; WaveLimiterHint : 1
; COMPUTE_PGM_RSRC2:SCRATCH_EN: 0
; COMPUTE_PGM_RSRC2:USER_SGPR: 6
; COMPUTE_PGM_RSRC2:TRAP_HANDLER: 0
; COMPUTE_PGM_RSRC2:TGID_X_EN: 1
; COMPUTE_PGM_RSRC2:TGID_Y_EN: 0
; COMPUTE_PGM_RSRC2:TGID_Z_EN: 0
; COMPUTE_PGM_RSRC2:TIDIG_COMP_CNT: 0
	.text
	.p2alignl 6, 3214868480
	.fill 48, 4, 3214868480
	.type	__hip_cuid_a07da998086e87da,@object ; @__hip_cuid_a07da998086e87da
	.section	.bss,"aw",@nobits
	.globl	__hip_cuid_a07da998086e87da
__hip_cuid_a07da998086e87da:
	.byte	0                               ; 0x0
	.size	__hip_cuid_a07da998086e87da, 1

	.ident	"AMD clang version 19.0.0git (https://github.com/RadeonOpenCompute/llvm-project roc-6.4.0 25133 c7fe45cf4b819c5991fe208aaa96edf142730f1d)"
	.section	".note.GNU-stack","",@progbits
	.addrsig
	.addrsig_sym __hip_cuid_a07da998086e87da
	.amdgpu_metadata
---
amdhsa.kernels:
  - .args:
      - .actual_access:  read_only
        .address_space:  global
        .offset:         0
        .size:           8
        .value_kind:     global_buffer
      - .actual_access:  read_only
        .address_space:  global
        .offset:         8
        .size:           8
        .value_kind:     global_buffer
      - .actual_access:  read_only
        .address_space:  global
        .offset:         16
        .size:           8
        .value_kind:     global_buffer
      - .actual_access:  read_only
        .address_space:  global
        .offset:         24
        .size:           8
        .value_kind:     global_buffer
      - .actual_access:  read_only
        .address_space:  global
        .offset:         32
        .size:           8
        .value_kind:     global_buffer
      - .offset:         40
        .size:           8
        .value_kind:     by_value
      - .address_space:  global
        .offset:         48
        .size:           8
        .value_kind:     global_buffer
      - .address_space:  global
        .offset:         56
        .size:           8
        .value_kind:     global_buffer
      - .address_space:  global
        .offset:         64
        .size:           8
        .value_kind:     global_buffer
      - .address_space:  global
        .offset:         72
        .size:           8
        .value_kind:     global_buffer
      - .offset:         80
        .size:           4
        .value_kind:     by_value
      - .address_space:  global
        .offset:         88
        .size:           8
        .value_kind:     global_buffer
      - .address_space:  global
        .offset:         96
        .size:           8
        .value_kind:     global_buffer
    .group_segment_fixed_size: 14256
    .kernarg_segment_align: 8
    .kernarg_segment_size: 104
    .language:       OpenCL C
    .language_version:
      - 2
      - 0
    .max_flat_workgroup_size: 198
    .name:           bluestein_single_fwd_len1188_dim1_half_op_CI_CI
    .private_segment_fixed_size: 0
    .sgpr_count:     22
    .sgpr_spill_count: 0
    .symbol:         bluestein_single_fwd_len1188_dim1_half_op_CI_CI.kd
    .uniform_work_group_size: 1
    .uses_dynamic_stack: false
    .vgpr_count:     213
    .vgpr_spill_count: 0
    .wavefront_size: 32
    .workgroup_processor_mode: 1
amdhsa.target:   amdgcn-amd-amdhsa--gfx1030
amdhsa.version:
  - 1
  - 2
...

	.end_amdgpu_metadata
